;; amdgpu-corpus repo=ROCm/rocFFT kind=compiled arch=gfx906 opt=O3
	.text
	.amdgcn_target "amdgcn-amd-amdhsa--gfx906"
	.amdhsa_code_object_version 6
	.protected	fft_rtc_back_len3000_factors_10_3_10_10_wgs_100_tpt_100_halfLds_sp_ip_CI_unitstride_sbrr_R2C_dirReg ; -- Begin function fft_rtc_back_len3000_factors_10_3_10_10_wgs_100_tpt_100_halfLds_sp_ip_CI_unitstride_sbrr_R2C_dirReg
	.globl	fft_rtc_back_len3000_factors_10_3_10_10_wgs_100_tpt_100_halfLds_sp_ip_CI_unitstride_sbrr_R2C_dirReg
	.p2align	8
	.type	fft_rtc_back_len3000_factors_10_3_10_10_wgs_100_tpt_100_halfLds_sp_ip_CI_unitstride_sbrr_R2C_dirReg,@function
fft_rtc_back_len3000_factors_10_3_10_10_wgs_100_tpt_100_halfLds_sp_ip_CI_unitstride_sbrr_R2C_dirReg: ; @fft_rtc_back_len3000_factors_10_3_10_10_wgs_100_tpt_100_halfLds_sp_ip_CI_unitstride_sbrr_R2C_dirReg
; %bb.0:
	s_load_dwordx2 s[2:3], s[4:5], 0x50
	s_load_dwordx4 s[8:11], s[4:5], 0x0
	s_load_dwordx2 s[12:13], s[4:5], 0x18
	v_mul_u32_u24_e32 v1, 0x290, v0
	v_add_u32_sdwa v5, s6, v1 dst_sel:DWORD dst_unused:UNUSED_PAD src0_sel:DWORD src1_sel:WORD_1
	v_mov_b32_e32 v3, 0
	s_waitcnt lgkmcnt(0)
	v_cmp_lt_u64_e64 s[0:1], s[10:11], 2
	v_mov_b32_e32 v1, 0
	v_mov_b32_e32 v6, v3
	s_and_b64 vcc, exec, s[0:1]
	v_mov_b32_e32 v2, 0
	s_cbranch_vccnz .LBB0_8
; %bb.1:
	s_load_dwordx2 s[0:1], s[4:5], 0x10
	s_add_u32 s6, s12, 8
	s_addc_u32 s7, s13, 0
	v_mov_b32_e32 v1, 0
	v_mov_b32_e32 v2, 0
	s_waitcnt lgkmcnt(0)
	s_add_u32 s14, s0, 8
	s_addc_u32 s15, s1, 0
	s_mov_b64 s[16:17], 1
.LBB0_2:                                ; =>This Inner Loop Header: Depth=1
	s_load_dwordx2 s[18:19], s[14:15], 0x0
                                        ; implicit-def: $vgpr7_vgpr8
	s_waitcnt lgkmcnt(0)
	v_or_b32_e32 v4, s19, v6
	v_cmp_ne_u64_e32 vcc, 0, v[3:4]
	s_and_saveexec_b64 s[0:1], vcc
	s_xor_b64 s[20:21], exec, s[0:1]
	s_cbranch_execz .LBB0_4
; %bb.3:                                ;   in Loop: Header=BB0_2 Depth=1
	v_cvt_f32_u32_e32 v4, s18
	v_cvt_f32_u32_e32 v7, s19
	s_sub_u32 s0, 0, s18
	s_subb_u32 s1, 0, s19
	v_mac_f32_e32 v4, 0x4f800000, v7
	v_rcp_f32_e32 v4, v4
	v_mul_f32_e32 v4, 0x5f7ffffc, v4
	v_mul_f32_e32 v7, 0x2f800000, v4
	v_trunc_f32_e32 v7, v7
	v_mac_f32_e32 v4, 0xcf800000, v7
	v_cvt_u32_f32_e32 v7, v7
	v_cvt_u32_f32_e32 v4, v4
	v_mul_lo_u32 v8, s0, v7
	v_mul_hi_u32 v9, s0, v4
	v_mul_lo_u32 v11, s1, v4
	v_mul_lo_u32 v10, s0, v4
	v_add_u32_e32 v8, v9, v8
	v_add_u32_e32 v8, v8, v11
	v_mul_hi_u32 v9, v4, v10
	v_mul_lo_u32 v11, v4, v8
	v_mul_hi_u32 v13, v4, v8
	v_mul_hi_u32 v12, v7, v10
	v_mul_lo_u32 v10, v7, v10
	v_mul_hi_u32 v14, v7, v8
	v_add_co_u32_e32 v9, vcc, v9, v11
	v_addc_co_u32_e32 v11, vcc, 0, v13, vcc
	v_mul_lo_u32 v8, v7, v8
	v_add_co_u32_e32 v9, vcc, v9, v10
	v_addc_co_u32_e32 v9, vcc, v11, v12, vcc
	v_addc_co_u32_e32 v10, vcc, 0, v14, vcc
	v_add_co_u32_e32 v8, vcc, v9, v8
	v_addc_co_u32_e32 v9, vcc, 0, v10, vcc
	v_add_co_u32_e32 v4, vcc, v4, v8
	v_addc_co_u32_e32 v7, vcc, v7, v9, vcc
	v_mul_lo_u32 v8, s0, v7
	v_mul_hi_u32 v9, s0, v4
	v_mul_lo_u32 v10, s1, v4
	v_mul_lo_u32 v11, s0, v4
	v_add_u32_e32 v8, v9, v8
	v_add_u32_e32 v8, v8, v10
	v_mul_lo_u32 v12, v4, v8
	v_mul_hi_u32 v13, v4, v11
	v_mul_hi_u32 v14, v4, v8
	;; [unrolled: 1-line block ×3, first 2 shown]
	v_mul_lo_u32 v11, v7, v11
	v_mul_hi_u32 v9, v7, v8
	v_add_co_u32_e32 v12, vcc, v13, v12
	v_addc_co_u32_e32 v13, vcc, 0, v14, vcc
	v_mul_lo_u32 v8, v7, v8
	v_add_co_u32_e32 v11, vcc, v12, v11
	v_addc_co_u32_e32 v10, vcc, v13, v10, vcc
	v_addc_co_u32_e32 v9, vcc, 0, v9, vcc
	v_add_co_u32_e32 v8, vcc, v10, v8
	v_addc_co_u32_e32 v9, vcc, 0, v9, vcc
	v_add_co_u32_e32 v4, vcc, v4, v8
	v_addc_co_u32_e32 v9, vcc, v7, v9, vcc
	v_mad_u64_u32 v[7:8], s[0:1], v5, v9, 0
	v_mul_hi_u32 v10, v5, v4
	v_add_co_u32_e32 v11, vcc, v10, v7
	v_addc_co_u32_e32 v12, vcc, 0, v8, vcc
	v_mad_u64_u32 v[7:8], s[0:1], v6, v4, 0
	v_mad_u64_u32 v[9:10], s[0:1], v6, v9, 0
	v_add_co_u32_e32 v4, vcc, v11, v7
	v_addc_co_u32_e32 v4, vcc, v12, v8, vcc
	v_addc_co_u32_e32 v7, vcc, 0, v10, vcc
	v_add_co_u32_e32 v4, vcc, v4, v9
	v_addc_co_u32_e32 v9, vcc, 0, v7, vcc
	v_mul_lo_u32 v10, s19, v4
	v_mul_lo_u32 v11, s18, v9
	v_mad_u64_u32 v[7:8], s[0:1], s18, v4, 0
	v_add3_u32 v8, v8, v11, v10
	v_sub_u32_e32 v10, v6, v8
	v_mov_b32_e32 v11, s19
	v_sub_co_u32_e32 v7, vcc, v5, v7
	v_subb_co_u32_e64 v10, s[0:1], v10, v11, vcc
	v_subrev_co_u32_e64 v11, s[0:1], s18, v7
	v_subbrev_co_u32_e64 v10, s[0:1], 0, v10, s[0:1]
	v_cmp_le_u32_e64 s[0:1], s19, v10
	v_cndmask_b32_e64 v12, 0, -1, s[0:1]
	v_cmp_le_u32_e64 s[0:1], s18, v11
	v_cndmask_b32_e64 v11, 0, -1, s[0:1]
	v_cmp_eq_u32_e64 s[0:1], s19, v10
	v_cndmask_b32_e64 v10, v12, v11, s[0:1]
	v_add_co_u32_e64 v11, s[0:1], 2, v4
	v_addc_co_u32_e64 v12, s[0:1], 0, v9, s[0:1]
	v_add_co_u32_e64 v13, s[0:1], 1, v4
	v_addc_co_u32_e64 v14, s[0:1], 0, v9, s[0:1]
	v_subb_co_u32_e32 v8, vcc, v6, v8, vcc
	v_cmp_ne_u32_e64 s[0:1], 0, v10
	v_cmp_le_u32_e32 vcc, s19, v8
	v_cndmask_b32_e64 v10, v14, v12, s[0:1]
	v_cndmask_b32_e64 v12, 0, -1, vcc
	v_cmp_le_u32_e32 vcc, s18, v7
	v_cndmask_b32_e64 v7, 0, -1, vcc
	v_cmp_eq_u32_e32 vcc, s19, v8
	v_cndmask_b32_e32 v7, v12, v7, vcc
	v_cmp_ne_u32_e32 vcc, 0, v7
	v_cndmask_b32_e64 v7, v13, v11, s[0:1]
	v_cndmask_b32_e32 v8, v9, v10, vcc
	v_cndmask_b32_e32 v7, v4, v7, vcc
.LBB0_4:                                ;   in Loop: Header=BB0_2 Depth=1
	s_andn2_saveexec_b64 s[0:1], s[20:21]
	s_cbranch_execz .LBB0_6
; %bb.5:                                ;   in Loop: Header=BB0_2 Depth=1
	v_cvt_f32_u32_e32 v4, s18
	s_sub_i32 s20, 0, s18
	v_rcp_iflag_f32_e32 v4, v4
	v_mul_f32_e32 v4, 0x4f7ffffe, v4
	v_cvt_u32_f32_e32 v4, v4
	v_mul_lo_u32 v7, s20, v4
	v_mul_hi_u32 v7, v4, v7
	v_add_u32_e32 v4, v4, v7
	v_mul_hi_u32 v4, v5, v4
	v_mul_lo_u32 v7, v4, s18
	v_add_u32_e32 v8, 1, v4
	v_sub_u32_e32 v7, v5, v7
	v_subrev_u32_e32 v9, s18, v7
	v_cmp_le_u32_e32 vcc, s18, v7
	v_cndmask_b32_e32 v7, v7, v9, vcc
	v_cndmask_b32_e32 v4, v4, v8, vcc
	v_add_u32_e32 v8, 1, v4
	v_cmp_le_u32_e32 vcc, s18, v7
	v_cndmask_b32_e32 v7, v4, v8, vcc
	v_mov_b32_e32 v8, v3
.LBB0_6:                                ;   in Loop: Header=BB0_2 Depth=1
	s_or_b64 exec, exec, s[0:1]
	v_mul_lo_u32 v4, v8, s18
	v_mul_lo_u32 v11, v7, s19
	v_mad_u64_u32 v[9:10], s[0:1], v7, s18, 0
	s_load_dwordx2 s[0:1], s[6:7], 0x0
	s_add_u32 s16, s16, 1
	v_add3_u32 v4, v10, v11, v4
	v_sub_co_u32_e32 v5, vcc, v5, v9
	v_subb_co_u32_e32 v4, vcc, v6, v4, vcc
	s_waitcnt lgkmcnt(0)
	v_mul_lo_u32 v4, s0, v4
	v_mul_lo_u32 v6, s1, v5
	v_mad_u64_u32 v[1:2], s[0:1], s0, v5, v[1:2]
	s_addc_u32 s17, s17, 0
	s_add_u32 s6, s6, 8
	v_add3_u32 v2, v6, v2, v4
	v_mov_b32_e32 v4, s10
	v_mov_b32_e32 v5, s11
	s_addc_u32 s7, s7, 0
	v_cmp_ge_u64_e32 vcc, s[16:17], v[4:5]
	s_add_u32 s14, s14, 8
	s_addc_u32 s15, s15, 0
	s_cbranch_vccnz .LBB0_9
; %bb.7:                                ;   in Loop: Header=BB0_2 Depth=1
	v_mov_b32_e32 v5, v7
	v_mov_b32_e32 v6, v8
	s_branch .LBB0_2
.LBB0_8:
	v_mov_b32_e32 v8, v6
	v_mov_b32_e32 v7, v5
.LBB0_9:
	s_lshl_b64 s[0:1], s[10:11], 3
	s_add_u32 s0, s12, s0
	s_addc_u32 s1, s13, s1
	s_load_dwordx2 s[6:7], s[0:1], 0x0
	s_load_dwordx2 s[10:11], s[4:5], 0x20
                                        ; implicit-def: $vgpr64
                                        ; implicit-def: $vgpr75
                                        ; implicit-def: $vgpr74
                                        ; implicit-def: $vgpr69
                                        ; implicit-def: $vgpr71
                                        ; implicit-def: $vgpr73
                                        ; implicit-def: $vgpr68
                                        ; implicit-def: $vgpr67
                                        ; implicit-def: $vgpr66
	s_waitcnt lgkmcnt(0)
	v_mad_u64_u32 v[1:2], s[0:1], s6, v7, v[1:2]
	s_mov_b32 s0, 0x28f5c29
	v_mul_lo_u32 v3, s6, v8
	v_mul_lo_u32 v4, s7, v7
	v_mul_hi_u32 v5, v0, s0
	v_cmp_gt_u64_e64 s[0:1], s[10:11], v[7:8]
	v_cmp_le_u64_e32 vcc, s[10:11], v[7:8]
	v_add3_u32 v2, v4, v2, v3
	v_mul_u32_u24_e32 v3, 0x64, v5
	v_sub_u32_e32 v60, v0, v3
	s_and_saveexec_b64 s[4:5], vcc
	s_xor_b64 s[4:5], exec, s[4:5]
; %bb.10:
	v_add_u32_e32 v64, 0x64, v60
	v_add_u32_e32 v75, 0xc8, v60
	;; [unrolled: 1-line block ×9, first 2 shown]
; %bb.11:
	s_or_saveexec_b64 s[4:5], s[4:5]
	v_lshlrev_b64 v[62:63], 3, v[1:2]
	s_xor_b64 exec, exec, s[4:5]
	s_cbranch_execz .LBB0_13
; %bb.12:
	v_mov_b32_e32 v61, 0
	v_mov_b32_e32 v0, s3
	v_add_co_u32_e32 v2, vcc, s2, v62
	v_addc_co_u32_e32 v3, vcc, v0, v63, vcc
	v_lshlrev_b64 v[0:1], 3, v[60:61]
	s_movk_i32 s6, 0x1000
	v_add_co_u32_e32 v0, vcc, v2, v0
	v_addc_co_u32_e32 v1, vcc, v3, v1, vcc
	v_add_co_u32_e32 v4, vcc, s6, v0
	v_addc_co_u32_e32 v5, vcc, 0, v1, vcc
	s_movk_i32 s6, 0x2000
	v_add_co_u32_e32 v14, vcc, s6, v0
	v_addc_co_u32_e32 v15, vcc, 0, v1, vcc
	s_movk_i32 s6, 0x3000
	global_load_dwordx2 v[2:3], v[0:1], off offset:2400
	global_load_dwordx2 v[6:7], v[0:1], off offset:3200
	;; [unrolled: 1-line block ×9, first 2 shown]
	global_load_dwordx2 v[24:25], v[0:1], off
	global_load_dwordx2 v[26:27], v[0:1], off offset:1600
	global_load_dwordx2 v[28:29], v[0:1], off offset:800
	s_nop 0
	global_load_dwordx2 v[4:5], v[14:15], off offset:1408
	global_load_dwordx2 v[30:31], v[14:15], off offset:2208
	;; [unrolled: 1-line block ×4, first 2 shown]
	v_add_co_u32_e32 v14, vcc, s6, v0
	v_addc_co_u32_e32 v15, vcc, 0, v1, vcc
	s_movk_i32 s6, 0x4000
	global_load_dwordx2 v[36:37], v[14:15], off offset:512
	global_load_dwordx2 v[38:39], v[14:15], off offset:1312
	;; [unrolled: 1-line block ×4, first 2 shown]
	v_add_co_u32_e32 v44, vcc, s6, v0
	v_addc_co_u32_e32 v45, vcc, 0, v1, vcc
	global_load_dwordx2 v[46:47], v[14:15], off offset:3712
	global_load_dwordx2 v[48:49], v[44:45], off offset:416
	;; [unrolled: 1-line block ×4, first 2 shown]
	v_add_co_u32_e32 v0, vcc, 0x5000, v0
	global_load_dwordx2 v[14:15], v[44:45], off offset:2816
	global_load_dwordx2 v[54:55], v[44:45], off offset:3616
	v_addc_co_u32_e32 v1, vcc, 0, v1, vcc
	global_load_dwordx2 v[44:45], v[0:1], off offset:320
	global_load_dwordx2 v[56:57], v[0:1], off offset:1120
	;; [unrolled: 1-line block ×4, first 2 shown]
	v_lshl_add_u32 v0, v60, 3, 0
	v_add_u32_e32 v1, 0x400, v0
	v_add_u32_e32 v61, 0x800, v0
	;; [unrolled: 1-line block ×13, first 2 shown]
	s_waitcnt vmcnt(19)
	ds_write2_b64 v1, v[26:27], v[2:3] offset0:72 offset1:172
	ds_write2_b64 v61, v[6:7], v[8:9] offset0:144 offset1:244
	s_waitcnt vmcnt(18)
	ds_write2_b64 v0, v[24:25], v[28:29] offset1:100
	ds_write2_b64 v64, v[10:11], v[12:13] offset0:88 offset1:188
	ds_write2_b64 v65, v[16:17], v[18:19] offset0:32 offset1:132
	;; [unrolled: 1-line block ×3, first 2 shown]
	s_waitcnt vmcnt(16)
	ds_write2_b64 v67, v[4:5], v[30:31] offset0:48 offset1:148
	s_waitcnt vmcnt(14)
	ds_write2_b64 v68, v[32:33], v[34:35] offset0:120 offset1:220
	;; [unrolled: 2-line block ×4, first 2 shown]
	v_add_u32_e32 v1, 0x3c00, v0
	v_add_u32_e32 v64, 0x64, v60
	s_waitcnt vmcnt(8)
	ds_write2_b64 v1, v[46:47], v[48:49] offset0:80 offset1:180
	v_add_u32_e32 v1, 0x4000, v0
	s_waitcnt vmcnt(6)
	ds_write2_b64 v1, v[50:51], v[52:53] offset0:152 offset1:252
	v_add_u32_e32 v1, 0x4800, v0
	v_add_u32_e32 v69, 0x190, v60
	s_waitcnt vmcnt(4)
	ds_write2_b64 v1, v[14:15], v[54:55] offset0:96 offset1:196
	v_add_u32_e32 v68, 0x2bc, v60
	v_add_u32_e32 v1, 0x5000, v0
	v_add_u32_e32 v67, 0x320, v60
	v_add_u32_e32 v66, 0x384, v60
	v_add_u32_e32 v0, 0x5400, v0
	s_waitcnt vmcnt(2)
	ds_write2_b64 v1, v[44:45], v[56:57] offset0:40 offset1:140
	s_waitcnt vmcnt(0)
	ds_write2_b64 v0, v[58:59], v[76:77] offset0:112 offset1:212
.LBB0_13:
	s_or_b64 exec, exec, s[4:5]
	v_lshlrev_b32_e32 v61, 3, v60
	v_add_u32_e32 v88, 0, v61
	v_add_u32_e32 v4, 0x1000, v88
	s_waitcnt lgkmcnt(0)
	s_barrier
	ds_read2_b64 v[40:43], v88 offset1:100
	ds_read2_b64 v[44:47], v4 offset0:88 offset1:188
	v_add_u32_e32 v93, 0x2400, v88
	ds_read2_b64 v[48:51], v93 offset0:48 offset1:148
	v_add_u32_e32 v95, 0x3800, v88
	;; [unrolled: 2-line block ×3, first 2 shown]
	ds_read2_b64 v[56:59], v97 offset0:96 offset1:196
	s_waitcnt lgkmcnt(3)
	v_add_f32_e32 v70, v40, v44
	s_waitcnt lgkmcnt(2)
	v_add_f32_e32 v70, v70, v48
	;; [unrolled: 2-line block ×3, first 2 shown]
	v_sub_f32_e32 v78, v49, v53
	s_waitcnt lgkmcnt(0)
	v_add_f32_e32 v72, v70, v56
	v_add_f32_e32 v70, v48, v52
	v_fma_f32 v70, -0.5, v70, v40
	v_sub_f32_e32 v77, v45, v57
	v_mov_b32_e32 v76, v70
	v_fmac_f32_e32 v76, 0xbf737871, v77
	v_sub_f32_e32 v79, v44, v48
	v_sub_f32_e32 v80, v56, v52
	v_fmac_f32_e32 v70, 0x3f737871, v77
	v_fmac_f32_e32 v76, 0xbf167918, v78
	v_add_f32_e32 v79, v79, v80
	v_fmac_f32_e32 v70, 0x3f167918, v78
	v_fmac_f32_e32 v76, 0x3e9e377a, v79
	;; [unrolled: 1-line block ×3, first 2 shown]
	v_add_f32_e32 v79, v44, v56
	v_fma_f32 v40, -0.5, v79, v40
	v_mov_b32_e32 v79, v40
	v_fmac_f32_e32 v79, 0x3f737871, v78
	v_fmac_f32_e32 v40, 0xbf737871, v78
	v_add_f32_e32 v78, v49, v53
	v_fma_f32 v99, -0.5, v78, v41
	v_sub_f32_e32 v80, v48, v44
	v_sub_f32_e32 v44, v44, v56
	v_mov_b32_e32 v100, v99
	v_add_u32_e32 v0, 0x400, v88
	v_add_u32_e32 v4, 0x1800, v88
	v_sub_f32_e32 v81, v52, v56
	v_fmac_f32_e32 v100, 0x3f737871, v44
	v_sub_f32_e32 v48, v48, v52
	v_sub_f32_e32 v52, v45, v49
	;; [unrolled: 1-line block ×3, first 2 shown]
	v_fmac_f32_e32 v99, 0xbf737871, v44
	ds_read2_b64 v[0:3], v0 offset0:72 offset1:172
	ds_read2_b64 v[24:27], v4 offset0:32 offset1:132
	v_add_u32_e32 v94, 0x2800, v88
	v_fmac_f32_e32 v100, 0x3f167918, v48
	v_add_f32_e32 v52, v52, v56
	v_fmac_f32_e32 v99, 0xbf167918, v48
	ds_read2_b64 v[28:31], v94 offset0:120 offset1:220
	v_add_u32_e32 v96, 0x3c00, v88
	v_fmac_f32_e32 v100, 0x3e9e377a, v52
	v_fmac_f32_e32 v99, 0x3e9e377a, v52
	v_add_f32_e32 v52, v45, v57
	ds_read2_b64 v[32:35], v96 offset0:80 offset1:180
	v_add_u32_e32 v92, 0x5000, v88
	v_fmac_f32_e32 v79, 0xbf167918, v77
	v_fmac_f32_e32 v40, 0x3f167918, v77
	v_add_f32_e32 v77, v41, v45
	v_fma_f32 v41, -0.5, v52, v41
	ds_read2_b64 v[36:39], v92 offset0:40 offset1:140
	v_mov_b32_e32 v101, v41
	v_fmac_f32_e32 v101, 0xbf737871, v48
	v_fmac_f32_e32 v41, 0x3f737871, v48
	;; [unrolled: 1-line block ×4, first 2 shown]
	s_waitcnt lgkmcnt(3)
	v_add_f32_e32 v44, v2, v26
	s_waitcnt lgkmcnt(2)
	v_add_f32_e32 v44, v44, v30
	;; [unrolled: 2-line block ×3, first 2 shown]
	v_add_f32_e32 v77, v77, v49
	v_sub_f32_e32 v45, v49, v45
	v_sub_f32_e32 v49, v53, v57
	s_waitcnt lgkmcnt(0)
	v_add_f32_e32 v52, v44, v38
	v_add_f32_e32 v44, v30, v34
	;; [unrolled: 1-line block ×4, first 2 shown]
	v_fma_f32 v53, -0.5, v44, v2
	v_fmac_f32_e32 v101, 0x3e9e377a, v45
	v_fmac_f32_e32 v41, 0x3e9e377a, v45
	v_sub_f32_e32 v44, v27, v39
	v_mov_b32_e32 v45, v53
	v_fmac_f32_e32 v45, 0xbf737871, v44
	v_sub_f32_e32 v48, v31, v35
	v_sub_f32_e32 v49, v26, v30
	;; [unrolled: 1-line block ×3, first 2 shown]
	v_fmac_f32_e32 v53, 0x3f737871, v44
	v_fmac_f32_e32 v45, 0xbf167918, v48
	v_add_f32_e32 v49, v49, v56
	v_fmac_f32_e32 v53, 0x3f167918, v48
	v_fmac_f32_e32 v45, 0x3e9e377a, v49
	;; [unrolled: 1-line block ×3, first 2 shown]
	v_add_f32_e32 v49, v26, v38
	v_fma_f32 v2, -0.5, v49, v2
	v_mov_b32_e32 v49, v2
	v_fmac_f32_e32 v49, 0x3f737871, v48
	v_fmac_f32_e32 v2, 0xbf737871, v48
	;; [unrolled: 1-line block ×4, first 2 shown]
	v_add_f32_e32 v44, v3, v27
	v_add_f32_e32 v44, v44, v31
	;; [unrolled: 1-line block ×3, first 2 shown]
	v_sub_f32_e32 v56, v30, v26
	v_sub_f32_e32 v57, v34, v38
	v_add_f32_e32 v44, v44, v35
	v_add_f32_e32 v56, v56, v57
	;; [unrolled: 1-line block ×4, first 2 shown]
	v_fmac_f32_e32 v49, 0x3e9e377a, v56
	v_fmac_f32_e32 v2, 0x3e9e377a, v56
	v_fma_f32 v56, -0.5, v44, v3
	v_sub_f32_e32 v26, v26, v38
	v_mov_b32_e32 v38, v56
	v_fmac_f32_e32 v38, 0x3f737871, v26
	v_sub_f32_e32 v30, v30, v34
	v_sub_f32_e32 v34, v27, v31
	v_sub_f32_e32 v44, v39, v35
	v_fmac_f32_e32 v56, 0xbf737871, v26
	v_fmac_f32_e32 v38, 0x3f167918, v30
	v_add_f32_e32 v34, v34, v44
	v_fmac_f32_e32 v56, 0xbf167918, v30
	v_fmac_f32_e32 v38, 0x3e9e377a, v34
	;; [unrolled: 1-line block ×3, first 2 shown]
	v_add_f32_e32 v34, v27, v39
	v_fma_f32 v3, -0.5, v34, v3
	v_mov_b32_e32 v34, v3
	v_sub_f32_e32 v27, v31, v27
	v_sub_f32_e32 v31, v35, v39
	v_fmac_f32_e32 v3, 0x3f737871, v30
	v_fmac_f32_e32 v34, 0xbf737871, v30
	v_add_f32_e32 v27, v27, v31
	v_fmac_f32_e32 v3, 0xbf167918, v26
	v_fmac_f32_e32 v34, 0x3f167918, v26
	v_fmac_f32_e32 v3, 0x3e9e377a, v27
	v_fmac_f32_e32 v34, 0x3e9e377a, v27
	v_mul_f32_e32 v30, 0xbf737871, v3
	v_mul_f32_e32 v3, 0xbe9e377a, v3
	;; [unrolled: 1-line block ×3, first 2 shown]
	v_fmac_f32_e32 v30, 0xbe9e377a, v2
	v_mul_f32_e32 v35, 0xbf167918, v56
	v_mul_f32_e32 v34, 0x3e9e377a, v34
	v_fmac_f32_e32 v3, 0x3f737871, v2
	v_mul_f32_e32 v2, 0xbf4f1bbd, v56
	v_add_f32_e32 v80, v80, v81
	v_mul_f32_e32 v26, 0xbf167918, v38
	v_fmac_f32_e32 v27, 0x3e9e377a, v49
	v_fmac_f32_e32 v35, 0xbf4f1bbd, v53
	;; [unrolled: 1-line block ×3, first 2 shown]
	v_add_f32_e32 v49, v41, v3
	v_fmac_f32_e32 v2, 0x3f167918, v53
	v_sub_f32_e32 v53, v41, v3
	v_add_f32_e32 v3, v50, v54
	v_fmac_f32_e32 v79, 0x3e9e377a, v80
	v_fmac_f32_e32 v26, 0x3f4f1bbd, v45
	v_mul_f32_e32 v31, 0x3f167918, v45
	v_fma_f32 v3, -0.5, v3, v42
	v_fmac_f32_e32 v40, 0x3e9e377a, v80
	v_add_f32_e32 v86, v76, v26
	v_add_f32_e32 v44, v79, v27
	v_fmac_f32_e32 v31, 0x3f4f1bbd, v38
	v_add_f32_e32 v45, v101, v34
	v_sub_f32_e32 v76, v76, v26
	v_sub_f32_e32 v78, v79, v27
	;; [unrolled: 1-line block ×4, first 2 shown]
	v_mov_b32_e32 v34, v3
	v_add_f32_e32 v82, v72, v52
	v_add_f32_e32 v48, v40, v30
	;; [unrolled: 1-line block ×4, first 2 shown]
	v_sub_f32_e32 v84, v72, v52
	v_sub_f32_e32 v52, v40, v30
	;; [unrolled: 1-line block ×4, first 2 shown]
	v_fmac_f32_e32 v34, 0xbf737871, v26
	v_sub_f32_e32 v27, v51, v55
	v_sub_f32_e32 v30, v46, v50
	v_sub_f32_e32 v31, v58, v54
	v_fmac_f32_e32 v3, 0x3f737871, v26
	v_fmac_f32_e32 v34, 0xbf167918, v27
	v_add_f32_e32 v30, v30, v31
	v_fmac_f32_e32 v3, 0x3f167918, v27
	v_fmac_f32_e32 v34, 0x3e9e377a, v30
	;; [unrolled: 1-line block ×3, first 2 shown]
	v_add_f32_e32 v30, v46, v58
	v_add_f32_e32 v80, v70, v35
	v_sub_f32_e32 v56, v70, v35
	v_fma_f32 v35, -0.5, v30, v42
	v_add_f32_e32 v81, v99, v2
	v_sub_f32_e32 v57, v99, v2
	v_add_f32_e32 v2, v42, v46
	v_mov_b32_e32 v42, v35
	v_fmac_f32_e32 v42, 0x3f737871, v27
	v_sub_f32_e32 v30, v50, v46
	v_sub_f32_e32 v31, v54, v58
	v_fmac_f32_e32 v35, 0xbf737871, v27
	v_add_f32_e32 v27, v51, v55
	v_fmac_f32_e32 v42, 0xbf167918, v26
	v_add_f32_e32 v30, v30, v31
	v_fmac_f32_e32 v35, 0x3f167918, v26
	v_fma_f32 v70, -0.5, v27, v43
	v_fmac_f32_e32 v42, 0x3e9e377a, v30
	v_fmac_f32_e32 v35, 0x3e9e377a, v30
	v_sub_f32_e32 v27, v46, v58
	v_mov_b32_e32 v46, v70
	v_sub_f32_e32 v30, v47, v51
	v_sub_f32_e32 v31, v59, v55
	v_fmac_f32_e32 v46, 0x3f737871, v27
	v_add_f32_e32 v30, v30, v31
	v_sub_f32_e32 v31, v50, v54
	v_fmac_f32_e32 v70, 0xbf737871, v27
	v_add_u32_e32 v90, 0x3000, v88
	v_add_u32_e32 v89, 0x4000, v88
	v_fmac_f32_e32 v46, 0x3f167918, v31
	v_fmac_f32_e32 v70, 0xbf167918, v31
	v_add_u32_e32 v98, 0x800, v88
	ds_read2_b64 v[12:15], v90 offset0:64 offset1:164
	ds_read2_b64 v[16:19], v89 offset0:152 offset1:252
	v_fmac_f32_e32 v46, 0x3e9e377a, v30
	v_fmac_f32_e32 v70, 0x3e9e377a, v30
	v_add_f32_e32 v30, v47, v59
	ds_read2_b64 v[4:7], v98 offset0:144 offset1:244
	v_add_u32_e32 v91, 0x1c00, v88
	v_add_u32_e32 v65, 0x5400, v88
	v_add_f32_e32 v26, v43, v47
	v_fmac_f32_e32 v43, -0.5, v30
	ds_read2_b64 v[8:11], v91 offset0:104 offset1:204
	ds_read2_b64 v[20:23], v65 offset0:112 offset1:212
	v_add_f32_e32 v2, v2, v50
	v_mov_b32_e32 v50, v43
	v_fmac_f32_e32 v50, 0xbf737871, v31
	v_sub_f32_e32 v30, v51, v47
	v_sub_f32_e32 v38, v55, v59
	v_fmac_f32_e32 v43, 0x3f737871, v31
	v_fmac_f32_e32 v50, 0x3f167918, v27
	v_add_f32_e32 v30, v30, v38
	v_fmac_f32_e32 v43, 0xbf167918, v27
	v_fmac_f32_e32 v50, 0x3e9e377a, v30
	v_fmac_f32_e32 v43, 0x3e9e377a, v30
	s_waitcnt lgkmcnt(3)
	v_add_f32_e32 v30, v12, v16
	s_waitcnt lgkmcnt(2)
	v_fma_f32 v30, -0.5, v30, v4
	s_waitcnt lgkmcnt(0)
	v_sub_f32_e32 v31, v9, v21
	v_mov_b32_e32 v39, v30
	v_fmac_f32_e32 v39, 0xbf737871, v31
	v_sub_f32_e32 v38, v13, v17
	v_sub_f32_e32 v40, v8, v12
	;; [unrolled: 1-line block ×3, first 2 shown]
	v_fmac_f32_e32 v30, 0x3f737871, v31
	v_fmac_f32_e32 v39, 0xbf167918, v38
	v_add_f32_e32 v40, v40, v41
	v_fmac_f32_e32 v30, 0x3f167918, v38
	v_fmac_f32_e32 v39, 0x3e9e377a, v40
	;; [unrolled: 1-line block ×3, first 2 shown]
	v_add_f32_e32 v40, v8, v20
	v_add_f32_e32 v27, v4, v8
	v_fma_f32 v4, -0.5, v40, v4
	v_mov_b32_e32 v41, v4
	v_add_f32_e32 v27, v27, v12
	v_fmac_f32_e32 v41, 0x3f737871, v38
	v_sub_f32_e32 v40, v12, v8
	v_sub_f32_e32 v47, v16, v20
	v_fmac_f32_e32 v4, 0xbf737871, v38
	v_add_f32_e32 v38, v13, v17
	v_add_f32_e32 v27, v27, v16
	v_add_f32_e32 v40, v40, v47
	v_fma_f32 v47, -0.5, v38, v5
	v_add_f32_e32 v27, v27, v20
	v_sub_f32_e32 v8, v8, v20
	v_mov_b32_e32 v20, v47
	v_fmac_f32_e32 v20, 0x3f737871, v8
	v_sub_f32_e32 v12, v12, v16
	v_sub_f32_e32 v16, v9, v13
	;; [unrolled: 1-line block ×3, first 2 shown]
	v_fmac_f32_e32 v47, 0xbf737871, v8
	v_fmac_f32_e32 v20, 0x3f167918, v12
	v_add_f32_e32 v16, v16, v38
	v_fmac_f32_e32 v47, 0xbf167918, v12
	v_fmac_f32_e32 v20, 0x3e9e377a, v16
	;; [unrolled: 1-line block ×3, first 2 shown]
	v_add_f32_e32 v16, v9, v21
	v_fmac_f32_e32 v41, 0xbf167918, v31
	v_fmac_f32_e32 v4, 0x3f167918, v31
	v_add_f32_e32 v31, v5, v9
	v_fma_f32 v5, -0.5, v16, v5
	v_mov_b32_e32 v16, v5
	v_add_f32_e32 v31, v31, v13
	v_fmac_f32_e32 v16, 0xbf737871, v12
	v_sub_f32_e32 v9, v13, v9
	v_sub_f32_e32 v13, v17, v21
	v_add_f32_e32 v31, v31, v17
	v_fmac_f32_e32 v16, 0x3f167918, v8
	v_add_f32_e32 v9, v9, v13
	v_mul_f32_e32 v17, 0xbf167918, v20
	v_add_f32_e32 v26, v26, v51
	v_fmac_f32_e32 v16, 0x3e9e377a, v9
	v_fmac_f32_e32 v5, 0x3f737871, v12
	;; [unrolled: 1-line block ×3, first 2 shown]
	v_add_f32_e32 v26, v26, v55
	v_fmac_f32_e32 v41, 0x3e9e377a, v40
	v_fmac_f32_e32 v4, 0x3e9e377a, v40
	v_add_f32_e32 v31, v31, v21
	v_fmac_f32_e32 v5, 0xbf167918, v8
	v_add_f32_e32 v40, v34, v17
	v_mul_f32_e32 v21, 0xbf737871, v16
	v_mul_f32_e32 v55, 0x3e9e377a, v16
	v_sub_f32_e32 v16, v34, v17
	v_add_f32_e32 v34, v0, v24
	v_add_f32_e32 v2, v2, v54
	v_fmac_f32_e32 v5, 0x3e9e377a, v9
	v_add_f32_e32 v34, v34, v28
	v_add_f32_e32 v2, v2, v58
	v_fmac_f32_e32 v21, 0x3e9e377a, v41
	v_mul_f32_e32 v51, 0x3f167918, v39
	v_mul_f32_e32 v54, 0xbf737871, v5
	;; [unrolled: 1-line block ×4, first 2 shown]
	v_add_f32_e32 v34, v34, v32
	v_add_f32_e32 v26, v26, v59
	;; [unrolled: 1-line block ×3, first 2 shown]
	v_fmac_f32_e32 v51, 0x3f4f1bbd, v20
	v_fmac_f32_e32 v58, 0xbf4f1bbd, v30
	;; [unrolled: 1-line block ×3, first 2 shown]
	v_sub_f32_e32 v20, v42, v21
	v_add_f32_e32 v42, v34, v36
	v_add_f32_e32 v34, v28, v32
	v_fmac_f32_e32 v54, 0xbe9e377a, v4
	v_mul_f32_e32 v47, 0xbf4f1bbd, v47
	v_add_f32_e32 v39, v26, v31
	v_sub_f32_e32 v13, v26, v31
	v_add_f32_e32 v26, v3, v58
	v_add_f32_e32 v31, v43, v5
	v_sub_f32_e32 v4, v3, v58
	v_sub_f32_e32 v3, v43, v5
	v_fma_f32 v43, -0.5, v34, v0
	v_fmac_f32_e32 v55, 0x3f737871, v41
	v_fmac_f32_e32 v47, 0x3f167918, v30
	v_add_f32_e32 v41, v46, v51
	v_sub_f32_e32 v17, v46, v51
	v_sub_f32_e32 v34, v25, v37
	v_mov_b32_e32 v46, v43
	v_add_f32_e32 v38, v2, v27
	v_add_f32_e32 v30, v35, v54
	v_sub_f32_e32 v12, v2, v27
	v_add_f32_e32 v9, v50, v55
	v_add_f32_e32 v27, v70, v47
	v_sub_f32_e32 v2, v35, v54
	v_sub_f32_e32 v21, v50, v55
	v_sub_f32_e32 v5, v70, v47
	v_fmac_f32_e32 v46, 0xbf737871, v34
	v_sub_f32_e32 v35, v29, v33
	v_sub_f32_e32 v47, v24, v28
	;; [unrolled: 1-line block ×3, first 2 shown]
	v_fmac_f32_e32 v43, 0x3f737871, v34
	v_fmac_f32_e32 v46, 0xbf167918, v35
	v_add_f32_e32 v47, v47, v50
	v_fmac_f32_e32 v43, 0x3f167918, v35
	v_fmac_f32_e32 v46, 0x3e9e377a, v47
	;; [unrolled: 1-line block ×3, first 2 shown]
	v_add_f32_e32 v47, v24, v36
	v_fma_f32 v0, -0.5, v47, v0
	v_mov_b32_e32 v47, v0
	v_fmac_f32_e32 v47, 0x3f737871, v35
	v_fmac_f32_e32 v0, 0xbf737871, v35
	;; [unrolled: 1-line block ×4, first 2 shown]
	v_add_f32_e32 v34, v1, v25
	v_sub_f32_e32 v50, v28, v24
	v_sub_f32_e32 v51, v32, v36
	v_add_f32_e32 v34, v34, v29
	v_add_f32_e32 v50, v50, v51
	;; [unrolled: 1-line block ×3, first 2 shown]
	v_fmac_f32_e32 v47, 0x3e9e377a, v50
	v_fmac_f32_e32 v0, 0x3e9e377a, v50
	v_add_f32_e32 v50, v34, v37
	v_add_f32_e32 v34, v29, v33
	v_sub_f32_e32 v28, v28, v32
	v_add_f32_e32 v32, v25, v37
	v_fma_f32 v51, -0.5, v34, v1
	v_fmac_f32_e32 v1, -0.5, v32
	v_mov_b32_e32 v54, v1
	v_sub_f32_e32 v24, v24, v36
	v_mov_b32_e32 v36, v51
	v_fmac_f32_e32 v54, 0xbf737871, v28
	v_fmac_f32_e32 v1, 0x3f737871, v28
	;; [unrolled: 1-line block ×6, first 2 shown]
	v_add_f32_e32 v24, v6, v10
	v_add_f32_e32 v24, v24, v14
	;; [unrolled: 1-line block ×3, first 2 shown]
	v_sub_f32_e32 v34, v25, v29
	v_sub_f32_e32 v35, v37, v33
	;; [unrolled: 1-line block ×4, first 2 shown]
	v_add_f32_e32 v37, v24, v22
	v_add_f32_e32 v24, v14, v18
	;; [unrolled: 1-line block ×3, first 2 shown]
	v_fma_f32 v55, -0.5, v24, v6
	v_fmac_f32_e32 v54, 0x3e9e377a, v25
	v_fmac_f32_e32 v1, 0x3e9e377a, v25
	v_sub_f32_e32 v24, v11, v23
	v_mov_b32_e32 v25, v55
	v_fmac_f32_e32 v36, 0x3f167918, v28
	v_fmac_f32_e32 v51, 0xbf167918, v28
	;; [unrolled: 1-line block ×3, first 2 shown]
	v_sub_f32_e32 v28, v15, v19
	v_sub_f32_e32 v29, v10, v14
	v_sub_f32_e32 v32, v22, v18
	v_fmac_f32_e32 v55, 0x3f737871, v24
	v_fmac_f32_e32 v25, 0xbf167918, v28
	v_add_f32_e32 v29, v29, v32
	v_fmac_f32_e32 v55, 0x3f167918, v28
	v_fmac_f32_e32 v25, 0x3e9e377a, v29
	;; [unrolled: 1-line block ×3, first 2 shown]
	v_add_f32_e32 v29, v10, v22
	v_fma_f32 v29, -0.5, v29, v6
	v_mov_b32_e32 v58, v29
	v_fmac_f32_e32 v58, 0x3f737871, v28
	v_sub_f32_e32 v6, v14, v10
	v_sub_f32_e32 v32, v18, v22
	v_fmac_f32_e32 v29, 0xbf737871, v28
	v_fmac_f32_e32 v58, 0xbf167918, v24
	v_add_f32_e32 v6, v6, v32
	v_fmac_f32_e32 v29, 0x3f167918, v24
	v_fmac_f32_e32 v58, 0x3e9e377a, v6
	;; [unrolled: 1-line block ×3, first 2 shown]
	v_add_f32_e32 v6, v7, v11
	v_add_f32_e32 v6, v6, v15
	v_add_f32_e32 v6, v6, v19
	v_add_f32_e32 v59, v6, v23
	v_add_f32_e32 v6, v15, v19
	v_fma_f32 v70, -0.5, v6, v7
	v_sub_f32_e32 v6, v10, v22
	v_mov_b32_e32 v10, v70
	v_fmac_f32_e32 v10, 0x3f737871, v6
	v_sub_f32_e32 v14, v14, v18
	v_sub_f32_e32 v18, v11, v15
	;; [unrolled: 1-line block ×3, first 2 shown]
	v_fmac_f32_e32 v70, 0xbf737871, v6
	v_fmac_f32_e32 v10, 0x3f167918, v14
	v_add_f32_e32 v18, v18, v22
	v_fmac_f32_e32 v70, 0xbf167918, v14
	v_fmac_f32_e32 v10, 0x3e9e377a, v18
	;; [unrolled: 1-line block ×3, first 2 shown]
	v_add_f32_e32 v18, v11, v23
	v_fmac_f32_e32 v7, -0.5, v18
	v_mov_b32_e32 v18, v7
	v_fmac_f32_e32 v18, 0xbf737871, v14
	v_sub_f32_e32 v11, v15, v11
	v_sub_f32_e32 v15, v19, v23
	v_fmac_f32_e32 v18, 0x3f167918, v6
	v_add_f32_e32 v11, v11, v15
	v_fmac_f32_e32 v18, 0x3e9e377a, v11
	v_add_f32_e32 v34, v34, v35
	v_mul_f32_e32 v15, 0xbf737871, v18
	v_mul_f32_e32 v72, 0x3f167918, v25
	v_fmac_f32_e32 v36, 0x3e9e377a, v34
	v_fmac_f32_e32 v7, 0x3f737871, v14
	;; [unrolled: 1-line block ×5, first 2 shown]
	v_add_f32_e32 v24, v47, v15
	v_add_f32_e32 v35, v36, v72
	v_mul_f32_e32 v99, 0x3e9e377a, v18
	v_sub_f32_e32 v18, v47, v15
	v_sub_f32_e32 v15, v36, v72
	v_mul_u32_u24_e32 v36, 10, v60
	v_fmac_f32_e32 v7, 0x3e9e377a, v11
	v_mul_f32_e32 v11, 0xbf167918, v10
	v_mul_f32_e32 v23, 0xbf167918, v70
	;; [unrolled: 1-line block ×3, first 2 shown]
	v_lshl_add_u32 v36, v36, 3, 0
	v_fmac_f32_e32 v51, 0x3e9e377a, v34
	v_fmac_f32_e32 v11, 0x3f4f1bbd, v25
	;; [unrolled: 1-line block ×3, first 2 shown]
	s_barrier
	ds_write2_b64 v36, v[82:83], v[86:87] offset1:1
	ds_write2_b64 v36, v[44:45], v[48:49] offset0:2 offset1:3
	ds_write2_b64 v36, v[80:81], v[84:85] offset0:4 offset1:5
	;; [unrolled: 1-line block ×4, first 2 shown]
	v_mul_i32_i24_e32 v36, 10, v64
	v_add_f32_e32 v34, v46, v11
	v_mul_f32_e32 v19, 0xbf737871, v7
	v_fmac_f32_e32 v99, 0x3f737871, v58
	v_mul_f32_e32 v58, 0xbe9e377a, v7
	v_add_f32_e32 v7, v51, v70
	v_sub_f32_e32 v14, v46, v11
	v_sub_f32_e32 v11, v51, v70
	v_lshl_add_u32 v70, v36, 3, 0
	v_fmac_f32_e32 v19, 0xbe9e377a, v29
	ds_write2_b64 v70, v[38:39], v[40:41] offset1:1
	ds_write2_b64 v70, v[8:9], v[30:31] offset0:2 offset1:3
	ds_write2_b64 v70, v[26:27], v[12:13] offset0:4 offset1:5
	ds_write2_b64 v70, v[16:17], v[20:21] offset0:6 offset1:7
	ds_write2_b64 v70, v[2:3], v[4:5] offset0:8 offset1:9
	v_mul_i32_i24_e32 v2, 10, v75
	v_add_f32_e32 v32, v42, v37
	v_add_f32_e32 v28, v0, v19
	v_fmac_f32_e32 v23, 0xbf4f1bbd, v55
	v_add_f32_e32 v33, v50, v59
	v_fmac_f32_e32 v58, 0x3f737871, v29
	v_sub_f32_e32 v0, v0, v19
	v_lshl_add_u32 v72, v2, 3, 0
	s_movk_i32 s5, 0xcd
	v_add_f32_e32 v6, v43, v23
	v_add_f32_e32 v25, v54, v99
	;; [unrolled: 1-line block ×3, first 2 shown]
	v_sub_f32_e32 v22, v42, v37
	v_sub_f32_e32 v10, v43, v23
	;; [unrolled: 1-line block ×5, first 2 shown]
	ds_write2_b64 v72, v[32:33], v[34:35] offset1:1
	ds_write2_b64 v72, v[24:25], v[28:29] offset0:2 offset1:3
	ds_write2_b64 v72, v[6:7], v[22:23] offset0:4 offset1:5
	;; [unrolled: 1-line block ×4, first 2 shown]
	v_mul_lo_u16_sdwa v0, v64, s5 dst_sel:DWORD dst_unused:UNUSED_PAD src0_sel:BYTE_0 src1_sel:DWORD
	v_lshrrev_b16_e32 v113, 11, v0
	s_mov_b32 s4, 0xcccd
	v_mul_lo_u16_e32 v0, 10, v113
	v_mul_u32_u24_sdwa v5, v75, s4 dst_sel:DWORD dst_unused:UNUSED_PAD src0_sel:WORD_0 src1_sel:DWORD
	v_mov_b32_e32 v4, 4
	v_sub_u16_e32 v114, v64, v0
	v_lshrrev_b32_e32 v109, 19, v5
	v_lshlrev_b32_sdwa v0, v4, v114 dst_sel:DWORD dst_unused:UNUSED_PAD src0_sel:DWORD src1_sel:BYTE_0
	v_mul_lo_u16_e32 v5, 10, v109
	s_waitcnt lgkmcnt(0)
	s_barrier
	global_load_dwordx4 v[0:3], v0, s[8:9]
	v_sub_u16_e32 v110, v75, v5
	v_lshlrev_b32_e32 v5, 4, v110
	global_load_dwordx4 v[8:11], v5, s[8:9]
	v_mul_u32_u24_sdwa v6, v73, s4 dst_sel:DWORD dst_unused:UNUSED_PAD src0_sel:WORD_0 src1_sel:DWORD
	v_lshrrev_b32_e32 v107, 19, v6
	v_mul_lo_u16_e32 v6, 10, v107
	v_sub_u16_e32 v108, v73, v6
	v_lshlrev_b32_e32 v6, 4, v108
	global_load_dwordx4 v[28:31], v6, s[8:9]
	v_mul_u32_u24_sdwa v5, v74, s4 dst_sel:DWORD dst_unused:UNUSED_PAD src0_sel:WORD_0 src1_sel:DWORD
	v_lshrrev_b32_e32 v105, 19, v5
	v_mul_lo_u16_e32 v5, 10, v105
	;; [unrolled: 6-line block ×3, first 2 shown]
	v_sub_u16_e32 v103, v69, v5
	v_lshlrev_b32_e32 v5, 4, v103
	global_load_dwordx4 v[16:19], v5, s[8:9]
	v_mul_lo_u16_sdwa v5, v60, s5 dst_sel:DWORD dst_unused:UNUSED_PAD src0_sel:BYTE_0 src1_sel:DWORD
	v_lshrrev_b16_e32 v77, 11, v5
	v_mul_lo_u16_e32 v5, 10, v77
	v_sub_u16_e32 v115, v60, v5
	v_mul_u32_u24_sdwa v5, v71, s4 dst_sel:DWORD dst_unused:UNUSED_PAD src0_sel:WORD_0 src1_sel:DWORD
	v_lshrrev_b32_e32 v111, 19, v5
	v_mul_lo_u16_e32 v5, 10, v111
	v_sub_u16_e32 v112, v71, v5
	v_lshlrev_b32_e32 v5, 4, v112
	v_mul_u32_u24_sdwa v6, v68, s4 dst_sel:DWORD dst_unused:UNUSED_PAD src0_sel:WORD_0 src1_sel:DWORD
	global_load_dwordx4 v[20:23], v5, s[8:9]
	v_lshrrev_b32_e32 v76, 19, v6
	v_mul_lo_u16_e32 v6, 10, v76
	v_sub_u16_e32 v87, v68, v6
	v_lshlrev_b32_sdwa v4, v4, v115 dst_sel:DWORD dst_unused:UNUSED_PAD src0_sel:DWORD src1_sel:BYTE_0
	v_lshlrev_b32_e32 v6, 4, v87
	global_load_dwordx4 v[24:27], v4, s[8:9]
	ds_read_b64 v[4:5], v88
	ds_read2_b32 v[116:117], v91 offset0:208 offset1:209
	ds_read2_b64 v[32:35], v95 offset0:108 offset1:208
	global_load_dwordx4 v[36:39], v6, s[8:9]
	v_add_u32_e32 v6, 0x2000, v88
	ds_read2_b64 v[40:43], v6 offset0:76 offset1:176
	ds_read2_b64 v[44:47], v89 offset0:52 offset1:152
	v_mul_u32_u24_sdwa v6, v67, s4 dst_sel:DWORD dst_unused:UNUSED_PAD src0_sel:WORD_0 src1_sel:DWORD
	v_lshrrev_b32_e32 v99, 19, v6
	v_mul_lo_u16_e32 v6, 10, v99
	v_sub_u16_e32 v100, v67, v6
	v_lshlrev_b32_e32 v6, 4, v100
	global_load_dwordx4 v[48:51], v6, s[8:9]
	ds_read2_b64 v[52:55], v94 offset0:20 offset1:120
	v_add_u32_e32 v56, 0x4400, v88
	ds_read2_b64 v[56:59], v56 offset0:124 offset1:224
	s_movk_i32 s5, 0xffb8
	v_mad_i32_i24 v86, v64, s5, v70
	v_mad_i32_i24 v85, v75, s5, v72
	v_lshl_add_u32 v83, v74, 3, 0
	v_lshl_add_u32 v84, v69, 3, 0
	;; [unrolled: 1-line block ×7, first 2 shown]
	s_add_u32 s6, s8, 0x5d70
	s_addc_u32 s7, s9, 0
	s_waitcnt vmcnt(8) lgkmcnt(3)
	v_mul_f32_e32 v118, v41, v1
	v_mul_f32_e32 v1, v40, v1
	v_fmac_f32_e32 v118, v40, v0
	v_fma_f32 v119, v41, v0, -v1
	s_waitcnt lgkmcnt(2)
	v_mul_f32_e32 v120, v45, v3
	v_mul_f32_e32 v0, v44, v3
	v_fmac_f32_e32 v120, v44, v2
	v_fma_f32 v44, v45, v2, -v0
	s_waitcnt vmcnt(7)
	v_mul_f32_e32 v0, v42, v9
	v_fma_f32 v121, v43, v8, -v0
	v_mul_u32_u24_sdwa v0, v66, s4 dst_sel:DWORD dst_unused:UNUSED_PAD src0_sel:WORD_0 src1_sel:DWORD
	v_lshrrev_b32_e32 v102, 19, v0
	v_mul_lo_u16_e32 v0, 10, v102
	v_sub_u16_e32 v104, v66, v0
	v_mul_f32_e32 v45, v43, v9
	v_lshlrev_b32_e32 v0, 4, v104
	v_fmac_f32_e32 v45, v42, v8
	global_load_dwordx4 v[40:43], v0, s[8:9]
	v_mul_f32_e32 v122, v47, v11
	v_mul_f32_e32 v0, v46, v11
	v_fmac_f32_e32 v122, v46, v10
	v_fma_f32 v46, v47, v10, -v0
	s_waitcnt vmcnt(6) lgkmcnt(1)
	v_mul_f32_e32 v0, v52, v13
	v_fma_f32 v123, v53, v12, -v0
	s_waitcnt lgkmcnt(0)
	v_mul_f32_e32 v0, v56, v15
	v_fma_f32 v125, v57, v14, -v0
	v_add_u32_e32 v0, 0x2c00, v88
	s_waitcnt vmcnt(5)
	v_mul_f32_e32 v126, v55, v17
	v_mul_f32_e32 v1, v54, v17
	ds_read2_b64 v[8:11], v0 offset0:92 offset1:192
	v_mul_f32_e32 v17, v59, v19
	v_mul_f32_e32 v0, v58, v19
	;; [unrolled: 1-line block ×4, first 2 shown]
	v_fmac_f32_e32 v17, v58, v18
	v_fma_f32 v18, v59, v18, -v0
	v_add_u32_e32 v0, 0x4c00, v88
	v_fmac_f32_e32 v47, v52, v12
	v_fmac_f32_e32 v124, v56, v14
	ds_read2_b64 v[12:15], v0 offset0:68 offset1:168
	s_waitcnt vmcnt(4) lgkmcnt(1)
	v_mul_f32_e32 v19, v9, v21
	v_mul_f32_e32 v0, v8, v21
	v_fmac_f32_e32 v19, v8, v20
	v_fma_f32 v20, v9, v20, -v0
	s_waitcnt lgkmcnt(0)
	v_mul_f32_e32 v21, v13, v23
	v_mul_f32_e32 v0, v12, v23
	v_fmac_f32_e32 v126, v54, v16
	v_fma_f32 v16, v55, v16, -v1
	v_fmac_f32_e32 v21, v12, v22
	v_fma_f32 v22, v13, v22, -v0
	v_add_u32_e32 v0, 0x3400, v88
	v_mul_f32_e32 v23, v11, v29
	v_mul_f32_e32 v1, v10, v29
	v_fmac_f32_e32 v23, v10, v28
	v_fma_f32 v29, v11, v28, -v1
	ds_read2_b64 v[8:11], v0 offset0:36 offset1:136
	v_mul_f32_e32 v127, v15, v31
	v_mul_f32_e32 v0, v14, v31
	v_fmac_f32_e32 v127, v14, v30
	v_fma_f32 v128, v15, v30, -v0
	ds_read2_b64 v[12:15], v92 offset0:140 offset1:240
	s_waitcnt vmcnt(2) lgkmcnt(1)
	v_mul_f32_e32 v0, v8, v37
	v_mul_f32_e32 v129, v9, v37
	v_fma_f32 v130, v9, v36, -v0
	v_fmac_f32_e32 v129, v8, v36
	s_waitcnt lgkmcnt(0)
	v_mul_f32_e32 v131, v13, v39
	v_mul_f32_e32 v0, v12, v39
	v_fmac_f32_e32 v131, v12, v38
	v_fma_f32 v12, v13, v38, -v0
	s_waitcnt vmcnt(1)
	v_mul_f32_e32 v0, v10, v49
	v_mul_f32_e32 v133, v15, v51
	;; [unrolled: 1-line block ×4, first 2 shown]
	v_fma_f32 v132, v11, v48, -v0
	v_fmac_f32_e32 v133, v14, v50
	v_mul_f32_e32 v0, v14, v51
	v_fma_f32 v11, v117, v24, -v8
	v_mul_f32_e32 v14, v35, v27
	v_mul_f32_e32 v8, v34, v27
	ds_read_b64 v[6:7], v85
	ds_read_b64 v[2:3], v84
	v_fma_f32 v134, v15, v50, -v0
	ds_read_b64 v[38:39], v86
	ds_read_b64 v[0:1], v78
	v_fmac_f32_e32 v14, v34, v26
	v_fma_f32 v15, v35, v26, -v8
	ds_read_b64 v[26:27], v83
	ds_read_b64 v[8:9], v88 offset:23200
	v_fmac_f32_e32 v13, v10, v48
	v_mul_f32_e32 v10, v117, v25
	v_fmac_f32_e32 v10, v24, v116
	s_movk_i32 s4, 0x89
	s_waitcnt vmcnt(0) lgkmcnt(0)
	v_mul_f32_e32 v135, v9, v43
	v_fmac_f32_e32 v135, v8, v42
	v_mul_f32_e32 v8, v8, v43
	v_fma_f32 v136, v9, v42, -v8
	v_add_f32_e32 v8, v4, v10
	v_add_f32_e32 v56, v8, v14
	v_add_f32_e32 v8, v10, v14
	v_fma_f32 v4, -0.5, v8, v4
	v_sub_f32_e32 v8, v11, v15
	v_mov_b32_e32 v58, v4
	v_fmac_f32_e32 v58, 0xbf5db3d7, v8
	v_fmac_f32_e32 v4, 0x3f5db3d7, v8
	v_add_f32_e32 v8, v5, v11
	v_add_f32_e32 v57, v8, v15
	v_add_f32_e32 v8, v11, v15
	v_fmac_f32_e32 v5, -0.5, v8
	v_sub_f32_e32 v8, v10, v14
	v_mov_b32_e32 v59, v5
	v_fmac_f32_e32 v59, 0x3f5db3d7, v8
	v_fmac_f32_e32 v5, 0xbf5db3d7, v8
	v_add_f32_e32 v8, v38, v118
	v_add_f32_e32 v52, v8, v120
	v_add_f32_e32 v8, v118, v120
	v_fma_f32 v38, -0.5, v8, v38
	v_sub_f32_e32 v8, v119, v44
	v_mov_b32_e32 v54, v38
	v_fmac_f32_e32 v54, 0xbf5db3d7, v8
	v_fmac_f32_e32 v38, 0x3f5db3d7, v8
	v_add_f32_e32 v8, v39, v119
	v_add_f32_e32 v53, v8, v44
	v_add_f32_e32 v8, v119, v44
	v_fmac_f32_e32 v39, -0.5, v8
	v_sub_f32_e32 v8, v118, v120
	v_mov_b32_e32 v55, v39
	v_fmac_f32_e32 v55, 0x3f5db3d7, v8
	v_fmac_f32_e32 v39, 0xbf5db3d7, v8
	v_add_f32_e32 v8, v6, v45
	v_add_f32_e32 v48, v8, v122
	v_add_f32_e32 v8, v45, v122
	v_fma_f32 v6, -0.5, v8, v6
	v_sub_f32_e32 v8, v121, v46
	v_mov_b32_e32 v50, v6
	v_fmac_f32_e32 v50, 0xbf5db3d7, v8
	v_fmac_f32_e32 v6, 0x3f5db3d7, v8
	v_add_f32_e32 v8, v7, v121
	v_add_f32_e32 v49, v8, v46
	v_add_f32_e32 v8, v121, v46
	v_fmac_f32_e32 v7, -0.5, v8
	v_sub_f32_e32 v8, v45, v122
	v_mov_b32_e32 v51, v7
	v_fmac_f32_e32 v51, 0x3f5db3d7, v8
	v_fmac_f32_e32 v7, 0xbf5db3d7, v8
	v_add_f32_e32 v8, v26, v47
	v_add_f32_e32 v44, v8, v124
	;; [unrolled: 1-line block ×3, first 2 shown]
	v_fma_f32 v26, -0.5, v8, v26
	v_sub_f32_e32 v8, v123, v125
	v_mov_b32_e32 v46, v26
	v_fmac_f32_e32 v46, 0xbf5db3d7, v8
	v_fmac_f32_e32 v26, 0x3f5db3d7, v8
	v_add_f32_e32 v8, v27, v123
	v_add_f32_e32 v45, v8, v125
	;; [unrolled: 1-line block ×3, first 2 shown]
	v_fmac_f32_e32 v27, -0.5, v8
	v_sub_f32_e32 v8, v47, v124
	v_mov_b32_e32 v47, v27
	v_mul_f32_e32 v116, v33, v41
	v_mul_f32_e32 v24, v32, v41
	v_fmac_f32_e32 v47, 0x3f5db3d7, v8
	v_fmac_f32_e32 v27, 0xbf5db3d7, v8
	v_add_f32_e32 v8, v2, v126
	v_fmac_f32_e32 v116, v32, v40
	v_fma_f32 v117, v33, v40, -v24
	v_add_f32_e32 v40, v8, v17
	v_add_f32_e32 v8, v126, v17
	ds_read_b64 v[32:33], v81
	v_fma_f32 v2, -0.5, v8, v2
	v_sub_f32_e32 v8, v16, v18
	v_mov_b32_e32 v42, v2
	v_fmac_f32_e32 v42, 0xbf5db3d7, v8
	v_fmac_f32_e32 v2, 0x3f5db3d7, v8
	v_add_f32_e32 v8, v3, v16
	v_add_f32_e32 v41, v8, v18
	;; [unrolled: 1-line block ×3, first 2 shown]
	v_fmac_f32_e32 v3, -0.5, v8
	s_waitcnt lgkmcnt(0)
	v_add_f32_e32 v16, v32, v19
	v_sub_f32_e32 v8, v126, v17
	v_mov_b32_e32 v43, v3
	v_add_f32_e32 v36, v16, v21
	v_add_f32_e32 v16, v33, v20
	v_fmac_f32_e32 v43, 0x3f5db3d7, v8
	v_fmac_f32_e32 v3, 0xbf5db3d7, v8
	ds_read_b64 v[14:15], v82
	ds_read_b64 v[10:11], v80
	ds_read_b64 v[8:9], v79
	v_add_f32_e32 v37, v16, v22
	v_add_f32_e32 v16, v20, v22
	v_fmac_f32_e32 v33, -0.5, v16
	v_sub_f32_e32 v16, v19, v21
	v_mov_b32_e32 v35, v33
	v_add_f32_e32 v17, v19, v21
	v_fmac_f32_e32 v35, 0x3f5db3d7, v16
	v_fmac_f32_e32 v33, 0xbf5db3d7, v16
	s_waitcnt lgkmcnt(2)
	v_add_f32_e32 v16, v14, v23
	v_fma_f32 v32, -0.5, v17, v32
	v_add_f32_e32 v30, v16, v127
	v_add_f32_e32 v16, v15, v29
	v_sub_f32_e32 v17, v20, v22
	v_mov_b32_e32 v34, v32
	v_add_f32_e32 v31, v16, v128
	v_add_f32_e32 v16, v29, v128
	v_fmac_f32_e32 v34, 0xbf5db3d7, v17
	v_fmac_f32_e32 v32, 0x3f5db3d7, v17
	v_add_f32_e32 v17, v23, v127
	v_fmac_f32_e32 v15, -0.5, v16
	v_fma_f32 v14, -0.5, v17, v14
	v_sub_f32_e32 v17, v29, v128
	v_sub_f32_e32 v16, v23, v127
	v_mov_b32_e32 v29, v15
	v_mov_b32_e32 v28, v14
	v_fmac_f32_e32 v29, 0x3f5db3d7, v16
	v_fmac_f32_e32 v15, 0xbf5db3d7, v16
	s_waitcnt lgkmcnt(1)
	v_add_f32_e32 v16, v10, v129
	v_fmac_f32_e32 v28, 0xbf5db3d7, v17
	v_fmac_f32_e32 v14, 0x3f5db3d7, v17
	v_add_f32_e32 v17, v129, v131
	v_add_f32_e32 v24, v16, v131
	;; [unrolled: 1-line block ×3, first 2 shown]
	v_fma_f32 v10, -0.5, v17, v10
	v_sub_f32_e32 v17, v130, v12
	v_add_f32_e32 v25, v16, v12
	v_add_f32_e32 v12, v130, v12
	v_fmac_f32_e32 v11, -0.5, v12
	v_sub_f32_e32 v12, v129, v131
	v_mov_b32_e32 v23, v11
	v_fmac_f32_e32 v23, 0x3f5db3d7, v12
	v_fmac_f32_e32 v11, 0xbf5db3d7, v12
	s_waitcnt lgkmcnt(0)
	v_add_f32_e32 v12, v8, v13
	v_add_f32_e32 v20, v12, v133
	;; [unrolled: 1-line block ×5, first 2 shown]
	v_fmac_f32_e32 v9, -0.5, v12
	v_add_f32_e32 v16, v13, v133
	v_sub_f32_e32 v12, v13, v133
	v_mov_b32_e32 v19, v9
	v_fma_f32 v8, -0.5, v16, v8
	v_fmac_f32_e32 v19, 0x3f5db3d7, v12
	v_fmac_f32_e32 v9, 0xbf5db3d7, v12
	v_add_f32_e32 v12, v116, v135
	v_sub_f32_e32 v16, v132, v134
	v_mov_b32_e32 v18, v8
	v_add_f32_e32 v13, v0, v116
	v_fma_f32 v0, -0.5, v12, v0
	v_fmac_f32_e32 v18, 0xbf5db3d7, v16
	v_fmac_f32_e32 v8, 0x3f5db3d7, v16
	v_sub_f32_e32 v16, v117, v136
	v_mov_b32_e32 v12, v0
	v_mov_b32_e32 v22, v10
	v_fmac_f32_e32 v12, 0xbf5db3d7, v16
	v_fmac_f32_e32 v0, 0x3f5db3d7, v16
	v_add_f32_e32 v16, v13, v135
	v_add_f32_e32 v13, v1, v117
	v_fmac_f32_e32 v22, 0xbf5db3d7, v17
	v_fmac_f32_e32 v10, 0x3f5db3d7, v17
	v_add_f32_e32 v17, v13, v136
	v_add_f32_e32 v13, v117, v136
	v_fmac_f32_e32 v1, -0.5, v13
	v_sub_f32_e32 v116, v116, v135
	v_mov_b32_e32 v13, v1
	v_fmac_f32_e32 v13, 0x3f5db3d7, v116
	v_fmac_f32_e32 v1, 0xbf5db3d7, v116
	v_mul_u32_u24_e32 v116, 0xf0, v77
	v_mov_b32_e32 v77, 3
	v_lshlrev_b32_sdwa v115, v77, v115 dst_sel:DWORD dst_unused:UNUSED_PAD src0_sel:DWORD src1_sel:BYTE_0
	v_add3_u32 v115, 0, v116, v115
	s_barrier
	ds_write2_b64 v115, v[56:57], v[58:59] offset1:10
	ds_write_b64 v115, v[4:5] offset:160
	v_mul_u32_u24_e32 v4, 0xf0, v113
	v_lshlrev_b32_sdwa v5, v77, v114 dst_sel:DWORD dst_unused:UNUSED_PAD src0_sel:DWORD src1_sel:BYTE_0
	v_add3_u32 v4, 0, v4, v5
	ds_write2_b64 v4, v[52:53], v[54:55] offset1:10
	ds_write_b64 v4, v[38:39] offset:160
	v_mul_u32_u24_e32 v4, 0xf0, v109
	v_lshlrev_b32_e32 v5, 3, v110
	v_add3_u32 v4, 0, v4, v5
	ds_write2_b64 v4, v[48:49], v[50:51] offset1:10
	ds_write_b64 v4, v[6:7] offset:160
	v_mul_u32_u24_e32 v4, 0xf0, v105
	v_lshlrev_b32_e32 v5, 3, v106
	;; [unrolled: 5-line block ×8, first 2 shown]
	v_add3_u32 v2, 0, v2, v3
	ds_write2_b64 v2, v[16:17], v[12:13] offset1:10
	ds_write_b64 v2, v[0:1] offset:160
	v_mul_lo_u16_sdwa v0, v60, s4 dst_sel:DWORD dst_unused:UNUSED_PAD src0_sel:BYTE_0 src1_sel:DWORD
	v_lshrrev_b16_e32 v102, 12, v0
	v_mul_lo_u16_e32 v0, 30, v102
	v_sub_u16_e32 v103, v60, v0
	v_mov_b32_e32 v0, 9
	v_mul_u32_u24_sdwa v1, v103, v0 dst_sel:DWORD dst_unused:UNUSED_PAD src0_sel:BYTE_0 src1_sel:DWORD
	v_lshlrev_b32_e32 v1, 3, v1
	s_waitcnt lgkmcnt(0)
	s_barrier
	global_load_dwordx4 v[2:5], v1, s[8:9] offset:160
	v_mul_lo_u16_sdwa v6, v64, s4 dst_sel:DWORD dst_unused:UNUSED_PAD src0_sel:BYTE_0 src1_sel:DWORD
	v_lshrrev_b16_e32 v101, 12, v6
	v_mul_lo_u16_e32 v6, 30, v101
	v_sub_u16_e32 v100, v64, v6
	v_mul_u32_u24_sdwa v0, v100, v0 dst_sel:DWORD dst_unused:UNUSED_PAD src0_sel:BYTE_0 src1_sel:DWORD
	v_lshlrev_b32_e32 v114, 3, v0
	global_load_dwordx4 v[6:9], v114, s[8:9] offset:160
	s_mov_b32 s4, 0x8889
	v_mul_u32_u24_sdwa v0, v75, s4 dst_sel:DWORD dst_unused:UNUSED_PAD src0_sel:WORD_0 src1_sel:DWORD
	v_lshrrev_b32_e32 v87, 20, v0
	v_mul_lo_u16_e32 v0, 30, v87
	v_sub_u16_e32 v99, v75, v0
	v_mul_u32_u24_e32 v0, 9, v99
	v_lshlrev_b32_e32 v115, 3, v0
	global_load_dwordx4 v[18:21], v115, s[8:9] offset:160
	global_load_dwordx4 v[22:25], v1, s[8:9] offset:176
	;; [unrolled: 1-line block ×7, first 2 shown]
	global_load_dwordx2 v[116:117], v1, s[8:9] offset:224
	global_load_dwordx4 v[48:51], v115, s[8:9] offset:208
	global_load_dwordx4 v[52:55], v115, s[8:9] offset:192
	ds_read_b64 v[0:1], v88
	ds_read_b64 v[10:11], v83
	;; [unrolled: 1-line block ×3, first 2 shown]
	ds_read2_b32 v[112:113], v78 offset1:1
	ds_read2_b64 v[56:59], v93 offset0:48 offset1:148
	ds_read2_b64 v[12:15], v98 offset0:144 offset1:244
	global_load_dwordx2 v[118:119], v114, s[8:9] offset:224
	global_load_dwordx2 v[120:121], v115, s[8:9] offset:224
	v_add_u32_e32 v76, 0x1400, v88
	ds_read2_b64 v[104:107], v76 offset0:60 offset1:160
	ds_read2_b64 v[108:111], v94 offset0:120 offset1:220
	v_mul_u32_u24_e32 v102, 0x960, v102
	v_lshlrev_b32_sdwa v103, v77, v103 dst_sel:DWORD dst_unused:UNUSED_PAD src0_sel:DWORD src1_sel:BYTE_0
	v_add3_u32 v102, 0, v102, v103
	s_waitcnt vmcnt(13) lgkmcnt(6)
	v_mul_f32_e32 v16, v3, v11
	v_mul_f32_e32 v3, v3, v10
	v_fmac_f32_e32 v16, v2, v10
	v_fma_f32 v17, v2, v11, -v3
	s_waitcnt lgkmcnt(5)
	v_mul_f32_e32 v122, v5, v35
	v_mul_f32_e32 v2, v5, v34
	v_fmac_f32_e32 v122, v4, v34
	v_fma_f32 v123, v4, v35, -v2
	global_load_dwordx4 v[2:5], v114, s[8:9] offset:208
	s_waitcnt vmcnt(13) lgkmcnt(2)
	v_mul_f32_e32 v10, v13, v7
	v_mul_f32_e32 v7, v12, v7
	v_fmac_f32_e32 v10, v12, v6
	v_fma_f32 v11, v13, v6, -v7
	s_waitcnt lgkmcnt(1)
	v_mul_f32_e32 v13, v105, v9
	v_mul_f32_e32 v6, v104, v9
	v_fmac_f32_e32 v13, v104, v8
	v_fma_f32 v12, v105, v8, -v6
	s_waitcnt vmcnt(12)
	v_mul_f32_e32 v9, v107, v21
	v_mul_f32_e32 v8, v106, v21
	v_fmac_f32_e32 v9, v106, v20
	v_fma_f32 v8, v107, v20, -v8
	ds_read2_b64 v[104:107], v91 offset0:104 offset1:204
	v_mul_f32_e32 v6, v15, v19
	v_fmac_f32_e32 v6, v14, v18
	v_mul_f32_e32 v7, v14, v19
	s_waitcnt vmcnt(11)
	v_mul_f32_e32 v14, v23, v112
	v_fma_f32 v19, v113, v22, -v14
	v_mul_f32_e32 v14, v56, v25
	v_fma_f32 v7, v15, v18, -v7
	v_fma_f32 v125, v57, v24, -v14
	s_waitcnt vmcnt(10)
	v_mul_f32_e32 v15, v59, v29
	v_mul_f32_e32 v14, v58, v29
	;; [unrolled: 1-line block ×3, first 2 shown]
	v_fmac_f32_e32 v15, v58, v28
	v_fma_f32 v28, v59, v28, -v14
	s_waitcnt lgkmcnt(0)
	v_mul_f32_e32 v14, v104, v27
	v_fmac_f32_e32 v124, v56, v24
	ds_read2_b64 v[56:59], v95 offset0:8 offset1:108
	v_mul_f32_e32 v24, v105, v27
	v_fma_f32 v18, v105, v26, -v14
	s_waitcnt vmcnt(9)
	v_mul_f32_e32 v14, v106, v31
	v_mul_f32_e32 v21, v108, v33
	v_fmac_f32_e32 v24, v104, v26
	v_mul_f32_e32 v20, v107, v31
	v_fma_f32 v14, v107, v30, -v14
	v_mul_f32_e32 v107, v109, v33
	v_fma_f32 v104, v109, v32, -v21
	s_waitcnt vmcnt(8)
	v_mul_f32_e32 v126, v111, v37
	v_mul_f32_e32 v21, v110, v37
	v_fmac_f32_e32 v107, v108, v32
	v_fmac_f32_e32 v126, v110, v36
	v_fma_f32 v127, v111, v36, -v21
	ds_read2_b64 v[108:111], v90 offset0:64 offset1:164
	v_mul_f32_e32 v35, v113, v23
	v_fmac_f32_e32 v35, v22, v112
	ds_read2_b64 v[112:115], v96 offset0:80 offset1:180
	s_waitcnt lgkmcnt(2)
	v_mul_f32_e32 v128, v57, v39
	v_mul_f32_e32 v21, v56, v39
	v_fmac_f32_e32 v128, v56, v38
	v_fma_f32 v56, v57, v38, -v21
	s_waitcnt vmcnt(7)
	v_mul_f32_e32 v21, v58, v43
	ds_read2_b64 v[36:39], v97 offset0:96 offset1:196
	v_mul_f32_e32 v33, v59, v43
	v_fma_f32 v31, v59, v42, -v21
	s_waitcnt lgkmcnt(2)
	v_mul_f32_e32 v26, v109, v41
	v_mul_f32_e32 v21, v108, v41
	v_fmac_f32_e32 v33, v58, v42
	v_fmac_f32_e32 v26, v108, v40
	v_fma_f32 v25, v109, v40, -v21
	ds_read2_b64 v[40:43], v92 offset0:40 offset1:140
	s_waitcnt vmcnt(3) lgkmcnt(2)
	v_mul_f32_e32 v23, v112, v55
	v_fma_f32 v109, v113, v54, -v23
	v_mul_f32_e32 v23, v114, v45
	v_mul_f32_e32 v22, v111, v53
	;; [unrolled: 1-line block ×3, first 2 shown]
	v_fma_f32 v58, v115, v44, -v23
	s_waitcnt lgkmcnt(1)
	v_mul_f32_e32 v59, v37, v47
	v_mul_f32_e32 v23, v36, v47
	v_fmac_f32_e32 v22, v110, v52
	v_mul_f32_e32 v21, v110, v53
	v_mul_f32_e32 v110, v113, v55
	v_fmac_f32_e32 v57, v114, v44
	v_fmac_f32_e32 v59, v36, v46
	v_fma_f32 v37, v37, v46, -v23
	ds_read2_b64 v[44:47], v65 offset0:112 offset1:212
	v_fmac_f32_e32 v110, v112, v54
	s_waitcnt lgkmcnt(1)
	v_mul_f32_e32 v112, v41, v51
	v_fmac_f32_e32 v112, v40, v50
	v_mul_f32_e32 v40, v40, v51
	v_fma_f32 v21, v111, v52, -v21
	s_waitcnt vmcnt(0)
	v_mul_f32_e32 v36, v39, v5
	v_fma_f32 v111, v41, v50, -v40
	v_add_f32_e32 v41, v124, v128
	v_fmac_f32_e32 v20, v106, v30
	v_fmac_f32_e32 v36, v38, v4
	v_mul_f32_e32 v5, v38, v5
	v_mul_f32_e32 v38, v43, v117
	;; [unrolled: 1-line block ×3, first 2 shown]
	v_fma_f32 v41, -0.5, v41, v0
	v_fma_f32 v34, v39, v4, -v5
	v_fmac_f32_e32 v38, v42, v116
	v_fma_f32 v39, v43, v116, -v30
	s_waitcnt lgkmcnt(0)
	v_mul_f32_e32 v32, v45, v119
	v_mul_f32_e32 v30, v44, v119
	;; [unrolled: 1-line block ×3, first 2 shown]
	v_sub_f32_e32 v42, v123, v37
	v_mov_b32_e32 v43, v41
	v_fmac_f32_e32 v32, v44, v118
	v_fma_f32 v30, v45, v118, -v30
	v_fmac_f32_e32 v108, v46, v120
	v_mul_f32_e32 v40, v46, v121
	v_fmac_f32_e32 v43, 0xbf737871, v42
	v_sub_f32_e32 v44, v125, v56
	v_sub_f32_e32 v45, v122, v124
	;; [unrolled: 1-line block ×3, first 2 shown]
	v_fmac_f32_e32 v41, 0x3f737871, v42
	v_fmac_f32_e32 v43, 0xbf167918, v44
	v_add_f32_e32 v45, v45, v46
	v_fmac_f32_e32 v41, 0x3f167918, v44
	v_fmac_f32_e32 v43, 0x3e9e377a, v45
	;; [unrolled: 1-line block ×3, first 2 shown]
	v_add_f32_e32 v45, v122, v59
	v_fma_f32 v106, v47, v120, -v40
	v_add_f32_e32 v40, v0, v122
	v_fma_f32 v0, -0.5, v45, v0
	v_mov_b32_e32 v45, v0
	ds_read2_b64 v[52:55], v89 offset0:152 offset1:252
	v_fmac_f32_e32 v45, 0x3f737871, v44
	v_fmac_f32_e32 v0, 0xbf737871, v44
	;; [unrolled: 1-line block ×4, first 2 shown]
	v_add_f32_e32 v42, v1, v123
	v_add_f32_e32 v42, v42, v125
	v_sub_f32_e32 v46, v124, v122
	v_sub_f32_e32 v47, v128, v59
	v_add_f32_e32 v42, v42, v56
	v_add_f32_e32 v46, v46, v47
	;; [unrolled: 1-line block ×4, first 2 shown]
	s_waitcnt lgkmcnt(0)
	v_mul_f32_e32 v29, v53, v3
	v_mul_f32_e32 v3, v52, v3
	v_fma_f32 v113, -0.5, v42, v1
	v_fmac_f32_e32 v29, v52, v2
	v_fma_f32 v27, v53, v2, -v3
	v_mul_f32_e32 v105, v55, v49
	v_mul_f32_e32 v2, v54, v49
	v_sub_f32_e32 v42, v122, v59
	v_mov_b32_e32 v114, v113
	v_fmac_f32_e32 v105, v54, v48
	v_fma_f32 v23, v55, v48, -v2
	v_fmac_f32_e32 v45, 0x3e9e377a, v46
	v_fmac_f32_e32 v0, 0x3e9e377a, v46
	;; [unrolled: 1-line block ×3, first 2 shown]
	v_sub_f32_e32 v44, v124, v128
	v_sub_f32_e32 v46, v123, v125
	;; [unrolled: 1-line block ×3, first 2 shown]
	v_fmac_f32_e32 v113, 0xbf737871, v42
	v_fmac_f32_e32 v114, 0x3f167918, v44
	v_add_f32_e32 v46, v46, v48
	v_fmac_f32_e32 v113, 0xbf167918, v44
	v_fmac_f32_e32 v114, 0x3e9e377a, v46
	;; [unrolled: 1-line block ×3, first 2 shown]
	v_add_f32_e32 v46, v123, v37
	v_fmac_f32_e32 v1, -0.5, v46
	v_mov_b32_e32 v115, v1
	v_fmac_f32_e32 v115, 0xbf737871, v44
	v_fmac_f32_e32 v1, 0x3f737871, v44
	;; [unrolled: 1-line block ×4, first 2 shown]
	v_add_f32_e32 v42, v126, v57
	v_sub_f32_e32 v46, v125, v123
	v_sub_f32_e32 v37, v56, v37
	v_fma_f32 v42, -0.5, v42, v16
	v_add_f32_e32 v37, v46, v37
	v_sub_f32_e32 v44, v19, v39
	v_mov_b32_e32 v46, v42
	v_fmac_f32_e32 v46, 0xbf737871, v44
	v_sub_f32_e32 v48, v127, v58
	v_sub_f32_e32 v49, v35, v126
	;; [unrolled: 1-line block ×3, first 2 shown]
	v_fmac_f32_e32 v42, 0x3f737871, v44
	v_fmac_f32_e32 v46, 0xbf167918, v48
	v_add_f32_e32 v49, v49, v50
	v_fmac_f32_e32 v42, 0x3f167918, v48
	v_fmac_f32_e32 v46, 0x3e9e377a, v49
	;; [unrolled: 1-line block ×3, first 2 shown]
	v_add_f32_e32 v49, v35, v38
	v_fmac_f32_e32 v115, 0x3e9e377a, v37
	v_fmac_f32_e32 v1, 0x3e9e377a, v37
	v_add_f32_e32 v37, v16, v35
	v_fmac_f32_e32 v16, -0.5, v49
	v_mov_b32_e32 v49, v16
	v_fmac_f32_e32 v49, 0x3f737871, v48
	v_fmac_f32_e32 v16, 0xbf737871, v48
	;; [unrolled: 1-line block ×4, first 2 shown]
	v_add_f32_e32 v44, v17, v19
	v_add_f32_e32 v44, v44, v127
	;; [unrolled: 1-line block ×7, first 2 shown]
	v_sub_f32_e32 v50, v126, v35
	v_sub_f32_e32 v51, v57, v38
	v_fma_f32 v44, -0.5, v44, v17
	v_add_f32_e32 v37, v37, v38
	v_add_f32_e32 v50, v50, v51
	v_sub_f32_e32 v35, v35, v38
	v_mov_b32_e32 v38, v44
	v_fmac_f32_e32 v49, 0x3e9e377a, v50
	v_fmac_f32_e32 v16, 0x3e9e377a, v50
	;; [unrolled: 1-line block ×3, first 2 shown]
	v_sub_f32_e32 v48, v126, v57
	v_sub_f32_e32 v50, v19, v127
	;; [unrolled: 1-line block ×3, first 2 shown]
	v_fmac_f32_e32 v44, 0xbf737871, v35
	v_fmac_f32_e32 v38, 0x3f167918, v48
	v_add_f32_e32 v50, v50, v51
	v_fmac_f32_e32 v44, 0xbf167918, v48
	v_fmac_f32_e32 v38, 0x3e9e377a, v50
	;; [unrolled: 1-line block ×3, first 2 shown]
	v_add_f32_e32 v50, v19, v39
	v_fmac_f32_e32 v17, -0.5, v50
	v_mov_b32_e32 v51, v17
	v_sub_f32_e32 v19, v127, v19
	v_sub_f32_e32 v39, v58, v39
	v_fmac_f32_e32 v17, 0x3f737871, v48
	v_add_f32_e32 v19, v19, v39
	v_fmac_f32_e32 v17, 0xbf167918, v35
	ds_read_b64 v[4:5], v86
	ds_read_b64 v[2:3], v85
	v_fmac_f32_e32 v17, 0x3e9e377a, v19
	v_fmac_f32_e32 v51, 0xbf737871, v48
	v_mul_f32_e32 v39, 0xbf737871, v17
	v_mul_f32_e32 v116, 0xbf167918, v44
	;; [unrolled: 1-line block ×3, first 2 shown]
	v_fmac_f32_e32 v51, 0x3f167918, v35
	v_fmac_f32_e32 v39, 0xbe9e377a, v16
	;; [unrolled: 1-line block ×4, first 2 shown]
	v_mul_f32_e32 v16, 0xbf4f1bbd, v44
	v_add_f32_e32 v40, v40, v124
	v_fmac_f32_e32 v51, 0x3e9e377a, v19
	v_mul_f32_e32 v19, 0xbf167918, v38
	v_add_f32_e32 v48, v41, v116
	v_add_f32_e32 v53, v1, v17
	v_fmac_f32_e32 v16, 0x3f167918, v42
	v_sub_f32_e32 v42, v41, v116
	v_sub_f32_e32 v41, v1, v17
	v_add_f32_e32 v1, v15, v33
	v_add_f32_e32 v40, v40, v128
	v_fmac_f32_e32 v19, 0x3f4f1bbd, v46
	v_mul_f32_e32 v35, 0xbf737871, v51
	v_mul_f32_e32 v117, 0x3e9e377a, v51
	s_waitcnt lgkmcnt(1)
	v_fma_f32 v1, -0.5, v1, v4
	v_add_f32_e32 v40, v40, v59
	v_add_f32_e32 v58, v43, v19
	v_fmac_f32_e32 v35, 0x3e9e377a, v49
	v_mul_f32_e32 v38, 0x3f4f1bbd, v38
	v_fmac_f32_e32 v117, 0x3f737871, v49
	v_add_f32_e32 v49, v113, v16
	v_sub_f32_e32 v44, v43, v19
	v_sub_f32_e32 v43, v113, v16
	v_sub_f32_e32 v16, v12, v34
	v_mov_b32_e32 v17, v1
	v_add_f32_e32 v56, v40, v37
	v_add_f32_e32 v50, v45, v35
	v_fmac_f32_e32 v38, 0x3f167918, v46
	v_sub_f32_e32 v54, v40, v37
	v_sub_f32_e32 v46, v45, v35
	v_fmac_f32_e32 v17, 0xbf737871, v16
	v_sub_f32_e32 v19, v28, v31
	v_sub_f32_e32 v35, v13, v15
	;; [unrolled: 1-line block ×3, first 2 shown]
	v_fmac_f32_e32 v1, 0x3f737871, v16
	v_fmac_f32_e32 v17, 0xbf167918, v19
	v_add_f32_e32 v35, v35, v37
	v_fmac_f32_e32 v1, 0x3f167918, v19
	v_fmac_f32_e32 v17, 0x3e9e377a, v35
	;; [unrolled: 1-line block ×3, first 2 shown]
	v_add_f32_e32 v35, v13, v36
	v_add_f32_e32 v52, v0, v39
	v_sub_f32_e32 v40, v0, v39
	v_add_f32_e32 v0, v4, v13
	v_fma_f32 v4, -0.5, v35, v4
	v_mov_b32_e32 v113, v4
	v_fmac_f32_e32 v113, 0x3f737871, v19
	v_fmac_f32_e32 v4, 0xbf737871, v19
	;; [unrolled: 1-line block ×4, first 2 shown]
	v_add_f32_e32 v16, v5, v12
	v_add_f32_e32 v16, v16, v28
	;; [unrolled: 1-line block ×6, first 2 shown]
	v_sub_f32_e32 v45, v114, v38
	v_fma_f32 v114, -0.5, v16, v5
	v_add_f32_e32 v57, v47, v55
	v_add_f32_e32 v51, v115, v117
	v_sub_f32_e32 v55, v47, v55
	v_sub_f32_e32 v47, v115, v117
	v_add_f32_e32 v0, v0, v15
	v_sub_f32_e32 v35, v15, v13
	v_sub_f32_e32 v13, v13, v36
	v_mov_b32_e32 v115, v114
	v_add_f32_e32 v0, v0, v33
	v_sub_f32_e32 v37, v33, v36
	v_fmac_f32_e32 v115, 0x3f737871, v13
	v_sub_f32_e32 v15, v15, v33
	v_sub_f32_e32 v16, v12, v28
	;; [unrolled: 1-line block ×3, first 2 shown]
	v_fmac_f32_e32 v114, 0xbf737871, v13
	v_fmac_f32_e32 v115, 0x3f167918, v15
	v_add_f32_e32 v16, v16, v33
	v_fmac_f32_e32 v114, 0xbf167918, v15
	v_fmac_f32_e32 v115, 0x3e9e377a, v16
	;; [unrolled: 1-line block ×3, first 2 shown]
	v_add_f32_e32 v16, v12, v34
	v_fmac_f32_e32 v5, -0.5, v16
	v_mov_b32_e32 v116, v5
	v_fmac_f32_e32 v116, 0xbf737871, v15
	v_fmac_f32_e32 v5, 0x3f737871, v15
	;; [unrolled: 1-line block ×4, first 2 shown]
	v_add_f32_e32 v13, v26, v29
	v_sub_f32_e32 v12, v28, v12
	v_sub_f32_e32 v16, v31, v34
	v_fma_f32 v13, -0.5, v13, v10
	v_add_f32_e32 v12, v12, v16
	v_sub_f32_e32 v15, v18, v30
	v_mov_b32_e32 v16, v13
	v_fmac_f32_e32 v16, 0xbf737871, v15
	v_sub_f32_e32 v28, v25, v27
	v_sub_f32_e32 v31, v24, v26
	;; [unrolled: 1-line block ×3, first 2 shown]
	v_fmac_f32_e32 v13, 0x3f737871, v15
	v_fmac_f32_e32 v16, 0xbf167918, v28
	v_add_f32_e32 v31, v31, v33
	v_fmac_f32_e32 v13, 0x3f167918, v28
	v_fmac_f32_e32 v16, 0x3e9e377a, v31
	;; [unrolled: 1-line block ×3, first 2 shown]
	v_add_f32_e32 v31, v24, v32
	v_fmac_f32_e32 v116, 0x3e9e377a, v12
	v_fmac_f32_e32 v5, 0x3e9e377a, v12
	v_add_f32_e32 v12, v10, v24
	v_fmac_f32_e32 v10, -0.5, v31
	v_mov_b32_e32 v31, v10
	v_fmac_f32_e32 v31, 0x3f737871, v28
	v_fmac_f32_e32 v10, 0xbf737871, v28
	v_add_f32_e32 v28, v25, v27
	v_add_f32_e32 v12, v12, v26
	v_fma_f32 v117, -0.5, v28, v11
	v_add_f32_e32 v12, v12, v29
	v_sub_f32_e32 v33, v26, v24
	v_sub_f32_e32 v24, v24, v32
	v_mov_b32_e32 v28, v117
	v_add_f32_e32 v12, v12, v32
	v_sub_f32_e32 v34, v29, v32
	v_fmac_f32_e32 v28, 0x3f737871, v24
	v_sub_f32_e32 v26, v26, v29
	v_sub_f32_e32 v29, v18, v25
	v_sub_f32_e32 v32, v30, v27
	v_fmac_f32_e32 v117, 0xbf737871, v24
	v_fmac_f32_e32 v28, 0x3f167918, v26
	v_add_f32_e32 v29, v29, v32
	v_fmac_f32_e32 v117, 0xbf167918, v26
	v_fmac_f32_e32 v28, 0x3e9e377a, v29
	;; [unrolled: 1-line block ×3, first 2 shown]
	v_add_f32_e32 v29, v18, v30
	v_fmac_f32_e32 v31, 0xbf167918, v15
	v_fmac_f32_e32 v10, 0x3f167918, v15
	v_add_f32_e32 v15, v11, v18
	v_fmac_f32_e32 v11, -0.5, v29
	v_mov_b32_e32 v29, v11
	v_add_f32_e32 v15, v15, v25
	v_fmac_f32_e32 v29, 0xbf737871, v26
	v_sub_f32_e32 v18, v25, v18
	v_sub_f32_e32 v25, v27, v30
	v_fmac_f32_e32 v11, 0x3f737871, v26
	v_fmac_f32_e32 v29, 0x3f167918, v24
	v_add_f32_e32 v18, v18, v25
	v_fmac_f32_e32 v11, 0xbf167918, v24
	v_fmac_f32_e32 v29, 0x3e9e377a, v18
	;; [unrolled: 1-line block ×3, first 2 shown]
	v_mul_f32_e32 v18, 0xbf167918, v28
	v_mul_f32_e32 v119, 0xbf167918, v117
	v_add_f32_e32 v33, v33, v34
	v_fmac_f32_e32 v18, 0x3f4f1bbd, v16
	v_fmac_f32_e32 v119, 0xbf4f1bbd, v13
	v_add_f32_e32 v35, v35, v37
	v_fmac_f32_e32 v10, 0x3e9e377a, v33
	v_add_f32_e32 v15, v15, v27
	v_add_f32_e32 v38, v17, v18
	v_mul_f32_e32 v27, 0xbf737871, v11
	v_mul_f32_e32 v118, 0x3f4f1bbd, v28
	;; [unrolled: 1-line block ×3, first 2 shown]
	v_add_f32_e32 v28, v1, v119
	v_sub_f32_e32 v24, v17, v18
	v_sub_f32_e32 v18, v1, v119
	v_add_f32_e32 v1, v107, v110
	v_fmac_f32_e32 v4, 0x3e9e377a, v35
	v_fmac_f32_e32 v27, 0xbe9e377a, v10
	v_fmac_f32_e32 v11, 0x3f737871, v10
	v_mul_f32_e32 v10, 0xbf4f1bbd, v117
	s_waitcnt lgkmcnt(0)
	v_fma_f32 v1, -0.5, v1, v2
	v_add_f32_e32 v0, v0, v36
	v_fmac_f32_e32 v113, 0x3e9e377a, v35
	v_fmac_f32_e32 v31, 0x3e9e377a, v33
	v_add_f32_e32 v15, v15, v30
	v_mul_f32_e32 v25, 0xbf737871, v29
	v_add_f32_e32 v34, v4, v27
	v_fmac_f32_e32 v118, 0x3f167918, v16
	v_mul_f32_e32 v120, 0x3e9e377a, v29
	v_add_f32_e32 v35, v5, v11
	v_fmac_f32_e32 v10, 0x3f167918, v13
	v_sub_f32_e32 v16, v4, v27
	v_sub_f32_e32 v17, v5, v11
	;; [unrolled: 1-line block ×3, first 2 shown]
	v_mov_b32_e32 v5, v1
	v_add_f32_e32 v36, v0, v12
	v_fmac_f32_e32 v25, 0x3e9e377a, v31
	v_fmac_f32_e32 v120, 0x3f737871, v31
	v_add_f32_e32 v37, v19, v15
	v_add_f32_e32 v29, v114, v10
	v_sub_f32_e32 v30, v0, v12
	v_sub_f32_e32 v31, v19, v15
	;; [unrolled: 1-line block ×3, first 2 shown]
	v_fmac_f32_e32 v5, 0xbf737871, v4
	v_sub_f32_e32 v10, v104, v109
	v_sub_f32_e32 v11, v9, v107
	;; [unrolled: 1-line block ×3, first 2 shown]
	v_fmac_f32_e32 v1, 0x3f737871, v4
	v_fmac_f32_e32 v5, 0xbf167918, v10
	v_add_f32_e32 v11, v11, v12
	v_fmac_f32_e32 v1, 0x3f167918, v10
	v_fmac_f32_e32 v5, 0x3e9e377a, v11
	;; [unrolled: 1-line block ×3, first 2 shown]
	v_add_f32_e32 v11, v9, v112
	v_add_f32_e32 v0, v2, v9
	v_fma_f32 v2, -0.5, v11, v2
	v_mov_b32_e32 v13, v2
	v_fmac_f32_e32 v13, 0x3f737871, v10
	v_fmac_f32_e32 v2, 0xbf737871, v10
	;; [unrolled: 1-line block ×4, first 2 shown]
	v_add_f32_e32 v4, v3, v8
	v_add_f32_e32 v4, v4, v104
	v_add_f32_e32 v4, v4, v109
	v_add_f32_e32 v32, v113, v25
	v_sub_f32_e32 v26, v113, v25
	v_add_f32_e32 v113, v4, v111
	v_add_f32_e32 v4, v104, v109
	v_sub_f32_e32 v11, v107, v9
	v_sub_f32_e32 v12, v110, v112
	v_fma_f32 v114, -0.5, v4, v3
	v_add_f32_e32 v11, v11, v12
	v_sub_f32_e32 v4, v9, v112
	v_mov_b32_e32 v9, v114
	v_fmac_f32_e32 v13, 0x3e9e377a, v11
	v_fmac_f32_e32 v2, 0x3e9e377a, v11
	;; [unrolled: 1-line block ×3, first 2 shown]
	v_sub_f32_e32 v10, v107, v110
	v_sub_f32_e32 v11, v8, v104
	v_sub_f32_e32 v12, v111, v109
	v_fmac_f32_e32 v114, 0xbf737871, v4
	v_fmac_f32_e32 v9, 0x3f167918, v10
	v_add_f32_e32 v11, v11, v12
	v_fmac_f32_e32 v114, 0xbf167918, v10
	v_fmac_f32_e32 v9, 0x3e9e377a, v11
	;; [unrolled: 1-line block ×3, first 2 shown]
	v_add_f32_e32 v11, v8, v111
	v_fmac_f32_e32 v3, -0.5, v11
	v_add_f32_e32 v0, v0, v107
	v_mov_b32_e32 v107, v3
	v_fmac_f32_e32 v107, 0xbf737871, v10
	v_sub_f32_e32 v8, v104, v8
	v_sub_f32_e32 v11, v109, v111
	v_fmac_f32_e32 v3, 0x3f737871, v10
	v_fmac_f32_e32 v107, 0x3f167918, v4
	v_add_f32_e32 v8, v8, v11
	v_fmac_f32_e32 v3, 0xbf167918, v4
	v_fmac_f32_e32 v107, 0x3e9e377a, v8
	;; [unrolled: 1-line block ×3, first 2 shown]
	v_add_f32_e32 v8, v22, v105
	v_fma_f32 v8, -0.5, v8, v6
	v_sub_f32_e32 v10, v14, v106
	v_mov_b32_e32 v11, v8
	v_fmac_f32_e32 v11, 0xbf737871, v10
	v_sub_f32_e32 v12, v21, v23
	v_sub_f32_e32 v15, v20, v22
	v_sub_f32_e32 v104, v108, v105
	v_fmac_f32_e32 v8, 0x3f737871, v10
	v_fmac_f32_e32 v11, 0xbf167918, v12
	v_add_f32_e32 v15, v15, v104
	v_fmac_f32_e32 v8, 0x3f167918, v12
	v_fmac_f32_e32 v11, 0x3e9e377a, v15
	;; [unrolled: 1-line block ×3, first 2 shown]
	v_add_f32_e32 v15, v20, v108
	v_add_f32_e32 v4, v6, v20
	v_fmac_f32_e32 v6, -0.5, v15
	v_mov_b32_e32 v15, v6
	v_fmac_f32_e32 v15, 0x3f737871, v12
	v_fmac_f32_e32 v6, 0xbf737871, v12
	;; [unrolled: 1-line block ×4, first 2 shown]
	v_add_f32_e32 v10, v7, v14
	v_sub_f32_e32 v104, v22, v20
	v_sub_f32_e32 v109, v105, v108
	v_add_f32_e32 v10, v10, v21
	v_add_f32_e32 v104, v104, v109
	;; [unrolled: 1-line block ×4, first 2 shown]
	v_fmac_f32_e32 v15, 0x3e9e377a, v104
	v_fmac_f32_e32 v6, 0x3e9e377a, v104
	v_add_f32_e32 v104, v10, v106
	v_add_f32_e32 v10, v21, v23
	;; [unrolled: 1-line block ×3, first 2 shown]
	v_fma_f32 v12, -0.5, v10, v7
	v_add_f32_e32 v4, v4, v108
	v_sub_f32_e32 v10, v20, v108
	v_mov_b32_e32 v108, v12
	v_fmac_f32_e32 v108, 0x3f737871, v10
	v_sub_f32_e32 v20, v22, v105
	v_sub_f32_e32 v22, v14, v21
	;; [unrolled: 1-line block ×3, first 2 shown]
	v_fmac_f32_e32 v12, 0xbf737871, v10
	v_fmac_f32_e32 v108, 0x3f167918, v20
	v_add_f32_e32 v22, v22, v105
	v_fmac_f32_e32 v12, 0xbf167918, v20
	v_fmac_f32_e32 v108, 0x3e9e377a, v22
	v_fmac_f32_e32 v12, 0x3e9e377a, v22
	v_add_f32_e32 v22, v14, v106
	v_fmac_f32_e32 v7, -0.5, v22
	v_mov_b32_e32 v105, v7
	s_barrier
	ds_write2_b64 v102, v[56:57], v[58:59] offset1:30
	ds_write2_b64 v102, v[50:51], v[52:53] offset0:60 offset1:90
	ds_write2_b64 v102, v[48:49], v[54:55] offset0:120 offset1:150
	;; [unrolled: 1-line block ×3, first 2 shown]
	v_add_u32_e32 v44, 0x400, v102
	v_fmac_f32_e32 v105, 0xbf737871, v20
	v_sub_f32_e32 v14, v21, v14
	v_sub_f32_e32 v21, v23, v106
	v_fmac_f32_e32 v7, 0x3f737871, v20
	ds_write2_b64 v44, v[40:41], v[42:43] offset0:112 offset1:142
	v_mul_u32_u24_e32 v40, 0x960, v101
	v_lshlrev_b32_sdwa v41, v77, v100 dst_sel:DWORD dst_unused:UNUSED_PAD src0_sel:DWORD src1_sel:BYTE_0
	v_add_f32_e32 v39, v115, v118
	v_fmac_f32_e32 v105, 0x3f167918, v10
	v_add_f32_e32 v14, v14, v21
	v_fmac_f32_e32 v7, 0xbf167918, v10
	v_add3_u32 v40, 0, v40, v41
	v_add_f32_e32 v33, v116, v120
	v_sub_f32_e32 v25, v115, v118
	v_sub_f32_e32 v27, v116, v120
	v_add_f32_e32 v0, v0, v110
	v_fmac_f32_e32 v105, 0x3e9e377a, v14
	v_fmac_f32_e32 v7, 0x3e9e377a, v14
	v_mul_f32_e32 v106, 0xbf167918, v108
	v_mul_f32_e32 v108, 0x3f4f1bbd, v108
	ds_write2_b64 v40, v[36:37], v[38:39] offset1:30
	ds_write2_b64 v40, v[32:33], v[34:35] offset0:60 offset1:90
	ds_write2_b64 v40, v[28:29], v[30:31] offset0:120 offset1:150
	;; [unrolled: 1-line block ×3, first 2 shown]
	v_add_u32_e32 v24, 0x400, v40
	v_add_f32_e32 v0, v0, v112
	v_fmac_f32_e32 v106, 0x3f4f1bbd, v11
	v_mul_f32_e32 v109, 0xbf737871, v105
	v_mul_f32_e32 v110, 0xbf737871, v7
	v_fmac_f32_e32 v108, 0x3f167918, v11
	v_mul_f32_e32 v111, 0xbf167918, v12
	v_mul_f32_e32 v105, 0x3e9e377a, v105
	;; [unrolled: 1-line block ×4, first 2 shown]
	ds_write2_b64 v24, v[16:17], v[18:19] offset0:112 offset1:142
	v_mul_u32_u24_e32 v16, 0x960, v87
	v_lshlrev_b32_e32 v17, 3, v99
	v_add_f32_e32 v20, v0, v4
	v_add_f32_e32 v22, v5, v106
	v_fmac_f32_e32 v109, 0x3e9e377a, v15
	v_fmac_f32_e32 v110, 0xbe9e377a, v6
	;; [unrolled: 1-line block ×5, first 2 shown]
	v_add_f32_e32 v21, v113, v104
	v_add_f32_e32 v23, v9, v108
	v_fmac_f32_e32 v115, 0x3f167918, v8
	v_sub_f32_e32 v12, v0, v4
	v_sub_f32_e32 v4, v5, v106
	v_add3_u32 v16, 0, v16, v17
	v_add_f32_e32 v10, v13, v109
	v_add_f32_e32 v14, v2, v110
	v_add_f32_e32 v6, v1, v111
	v_add_f32_e32 v11, v107, v105
	v_add_f32_e32 v15, v3, v112
	v_add_f32_e32 v7, v114, v115
	v_sub_f32_e32 v8, v13, v109
	v_sub_f32_e32 v0, v2, v110
	;; [unrolled: 1-line block ×8, first 2 shown]
	ds_write2_b64 v16, v[20:21], v[22:23] offset1:30
	ds_write2_b64 v16, v[10:11], v[14:15] offset0:60 offset1:90
	ds_write2_b64 v16, v[6:7], v[12:13] offset0:120 offset1:150
	;; [unrolled: 1-line block ×3, first 2 shown]
	v_add_u32_e32 v4, 0x400, v16
	ds_write2_b64 v4, v[0:1], v[2:3] offset0:112 offset1:142
	v_mul_i32_i24_e32 v0, 9, v64
	v_mov_b32_e32 v1, 0
	v_lshlrev_b64 v[2:3], 3, v[0:1]
	v_mul_i32_i24_e32 v0, 9, v75
	v_mov_b32_e32 v8, s9
	v_add_co_u32_e32 v10, vcc, s8, v2
	v_lshlrev_b64 v[6:7], 3, v[0:1]
	v_addc_co_u32_e32 v11, vcc, v8, v3, vcc
	v_add_co_u32_e32 v118, vcc, s8, v6
	s_waitcnt lgkmcnt(0)
	s_barrier
	global_load_dwordx4 v[2:5], v[10:11], off offset:2320
	v_addc_co_u32_e32 v119, vcc, v8, v7, vcc
	global_load_dwordx4 v[6:9], v[118:119], off offset:2320
	v_mul_u32_u24_e32 v0, 9, v60
	v_lshlrev_b32_e32 v0, 3, v0
	global_load_dwordx4 v[12:15], v0, s[8:9] offset:2320
	global_load_dwordx4 v[16:19], v0, s[8:9] offset:2336
	;; [unrolled: 1-line block ×4, first 2 shown]
	global_load_dwordx4 v[36:39], v[10:11], off offset:2336
	global_load_dwordx4 v[46:49], v[10:11], off offset:2352
	global_load_dwordx2 v[120:121], v0, s[8:9] offset:2384
	global_load_dwordx4 v[52:55], v[118:119], off offset:2336
	ds_read_b64 v[20:21], v88
	ds_read_b64 v[122:123], v83
	;; [unrolled: 1-line block ×4, first 2 shown]
	global_load_dwordx4 v[56:59], v[10:11], off offset:2368
	ds_read2_b64 v[40:43], v93 offset0:48 offset1:148
	ds_read2_b64 v[98:101], v98 offset0:144 offset1:244
	ds_read2_b64 v[102:105], v94 offset0:120 offset1:220
	ds_read2_b64 v[106:109], v95 offset0:8 offset1:108
	ds_read2_b64 v[93:96], v96 offset0:80 offset1:180
	ds_read2_b64 v[110:113], v76 offset0:60 offset1:160
	ds_read2_b64 v[114:117], v97 offset0:96 offset1:196
	global_load_dwordx2 v[76:77], v[10:11], off offset:2384
	v_cmp_ne_u32_e32 vcc, 0, v60
	s_waitcnt vmcnt(9) lgkmcnt(9)
	v_mul_f32_e32 v11, v13, v123
	s_waitcnt lgkmcnt(5)
	v_mul_f32_e32 v33, v99, v3
	v_mul_f32_e32 v0, v98, v3
	v_fmac_f32_e32 v33, v98, v2
	v_fma_f32 v35, v99, v2, -v0
	s_waitcnt lgkmcnt(1)
	v_mul_f32_e32 v0, v110, v5
	v_mul_f32_e32 v2, v100, v7
	v_fma_f32 v26, v111, v4, -v0
	v_mul_f32_e32 v0, v101, v7
	v_fma_f32 v51, v101, v6, -v2
	v_mul_f32_e32 v45, v113, v9
	v_mul_f32_e32 v2, v112, v9
	v_fmac_f32_e32 v0, v100, v6
	v_fmac_f32_e32 v45, v112, v8
	v_fma_f32 v44, v113, v8, -v2
	global_load_dwordx4 v[6:9], v[118:119], off offset:2368
	global_load_dwordx4 v[97:100], v[118:119], off offset:2352
	v_mul_f32_e32 v2, v13, v122
	global_load_dwordx2 v[118:119], v[118:119], off offset:2384
	v_fma_f32 v13, v12, v123, -v2
	v_mul_f32_e32 v2, v15, v124
	v_mul_f32_e32 v27, v111, v5
	v_fmac_f32_e32 v11, v12, v122
	v_fma_f32 v12, v14, v125, -v2
	s_waitcnt vmcnt(11)
	v_mul_f32_e32 v2, v17, v126
	v_fmac_f32_e32 v27, v110, v4
	v_mul_f32_e32 v10, v15, v125
	v_mul_f32_e32 v5, v17, v127
	v_fma_f32 v4, v16, v127, -v2
	v_mul_f32_e32 v87, v41, v19
	v_mul_f32_e32 v2, v40, v19
	v_fmac_f32_e32 v10, v14, v124
	v_fmac_f32_e32 v5, v16, v126
	;; [unrolled: 1-line block ×3, first 2 shown]
	v_fma_f32 v18, v41, v18, -v2
	s_waitcnt vmcnt(10)
	v_mul_f32_e32 v19, v105, v23
	v_mul_f32_e32 v2, v104, v23
	ds_read2_b64 v[14:17], v91 offset0:104 offset1:204
	v_fmac_f32_e32 v19, v104, v22
	v_fma_f32 v22, v105, v22, -v2
	v_mul_f32_e32 v23, v107, v25
	v_mul_f32_e32 v2, v106, v25
	v_fmac_f32_e32 v23, v106, v24
	v_fma_f32 v101, v107, v24, -v2
	s_waitcnt vmcnt(9)
	v_mul_f32_e32 v122, v96, v29
	v_mul_f32_e32 v2, v95, v29
	ds_read2_b64 v[104:107], v90 offset0:64 offset1:164
	v_fmac_f32_e32 v122, v95, v28
	v_fma_f32 v95, v96, v28, -v2
	s_waitcnt lgkmcnt(2)
	v_mul_f32_e32 v2, v114, v31
	v_fma_f32 v123, v115, v30, -v2
	s_waitcnt vmcnt(8)
	v_mul_f32_e32 v41, v43, v39
	v_mul_f32_e32 v2, v42, v39
	v_fmac_f32_e32 v41, v42, v38
	v_fma_f32 v38, v43, v38, -v2
	s_waitcnt lgkmcnt(1)
	v_mul_f32_e32 v2, v14, v37
	ds_read2_b64 v[110:113], v92 offset0:40 offset1:140
	v_fma_f32 v28, v15, v36, -v2
	s_waitcnt vmcnt(7)
	v_mul_f32_e32 v2, v108, v49
	ds_read2_b64 v[89:92], v89 offset0:152 offset1:252
	v_fma_f32 v39, v109, v48, -v2
	s_waitcnt lgkmcnt(2)
	v_mul_f32_e32 v2, v104, v47
	v_mul_f32_e32 v96, v115, v31
	v_fma_f32 v29, v105, v46, -v2
	s_waitcnt vmcnt(4)
	v_mul_f32_e32 v43, v117, v59
	v_mul_f32_e32 v2, v116, v59
	v_fmac_f32_e32 v96, v114, v30
	v_fmac_f32_e32 v43, v116, v58
	v_fma_f32 v40, v117, v58, -v2
	ds_read2_b64 v[114:117], v65 offset0:112 offset1:212
	s_waitcnt lgkmcnt(1)
	v_mul_f32_e32 v2, v89, v57
	v_mul_f32_e32 v42, v109, v49
	v_fma_f32 v30, v90, v56, -v2
	v_mul_f32_e32 v49, v17, v53
	v_mul_f32_e32 v2, v16, v53
	;; [unrolled: 1-line block ×3, first 2 shown]
	v_fmac_f32_e32 v42, v108, v48
	v_fmac_f32_e32 v32, v14, v36
	v_mul_f32_e32 v36, v90, v57
	v_fmac_f32_e32 v49, v16, v52
	s_waitcnt vmcnt(3) lgkmcnt(0)
	v_mul_f32_e32 v16, v114, v77
	v_fma_f32 v31, v115, v76, -v16
	v_mul_f32_e32 v16, v102, v55
	v_mul_f32_e32 v58, v103, v55
	v_fma_f32 v55, v103, v54, -v16
	v_mul_f32_e32 v34, v105, v47
	v_fmac_f32_e32 v36, v89, v56
	v_fmac_f32_e32 v34, v104, v46
	v_fma_f32 v46, v17, v52, -v2
	v_mul_f32_e32 v37, v115, v77
	v_fmac_f32_e32 v37, v114, v76
	v_mul_f32_e32 v14, v113, v121
	v_fmac_f32_e32 v14, v112, v120
	v_mul_f32_e32 v15, v112, v121
	v_fma_f32 v15, v113, v120, -v15
	s_waitcnt vmcnt(2)
	v_mul_f32_e32 v53, v92, v7
	v_mul_f32_e32 v7, v91, v7
	v_fmac_f32_e32 v53, v91, v6
	v_fma_f32 v48, v92, v6, -v7
	v_mul_f32_e32 v6, v110, v9
	v_fma_f32 v57, v111, v8, -v6
	s_waitcnt vmcnt(0)
	v_mul_f32_e32 v6, v116, v119
	v_fma_f32 v50, v117, v118, -v6
	v_add_f32_e32 v6, v20, v10
	v_mul_f32_e32 v16, v106, v98
	v_add_f32_e32 v6, v6, v87
	v_fma_f32 v47, v107, v97, -v16
	v_mul_f32_e32 v16, v93, v100
	v_add_f32_e32 v6, v6, v23
	v_fma_f32 v56, v94, v99, -v16
	v_add_f32_e32 v16, v6, v96
	v_add_f32_e32 v6, v87, v23
	v_fma_f32 v17, -0.5, v6, v20
	v_mul_f32_e32 v65, v111, v9
	v_sub_f32_e32 v6, v12, v123
	v_mov_b32_e32 v77, v17
	v_fmac_f32_e32 v65, v110, v8
	v_fmac_f32_e32 v77, 0xbf737871, v6
	v_sub_f32_e32 v7, v18, v101
	v_sub_f32_e32 v8, v10, v87
	;; [unrolled: 1-line block ×3, first 2 shown]
	v_fmac_f32_e32 v17, 0x3f737871, v6
	v_fmac_f32_e32 v77, 0xbf167918, v7
	v_add_f32_e32 v8, v8, v9
	v_fmac_f32_e32 v17, 0x3f167918, v7
	v_fmac_f32_e32 v77, 0x3e9e377a, v8
	;; [unrolled: 1-line block ×3, first 2 shown]
	v_add_f32_e32 v8, v10, v96
	v_fma_f32 v20, -0.5, v8, v20
	v_mov_b32_e32 v89, v20
	v_fmac_f32_e32 v89, 0x3f737871, v7
	v_fmac_f32_e32 v20, 0xbf737871, v7
	;; [unrolled: 1-line block ×4, first 2 shown]
	v_add_f32_e32 v6, v21, v12
	v_add_f32_e32 v6, v6, v18
	;; [unrolled: 1-line block ×5, first 2 shown]
	v_sub_f32_e32 v8, v87, v10
	v_sub_f32_e32 v9, v23, v96
	v_fma_f32 v76, -0.5, v6, v21
	v_add_f32_e32 v8, v8, v9
	v_sub_f32_e32 v6, v10, v96
	v_mov_b32_e32 v91, v76
	v_fmac_f32_e32 v89, 0x3e9e377a, v8
	v_fmac_f32_e32 v20, 0x3e9e377a, v8
	;; [unrolled: 1-line block ×3, first 2 shown]
	v_sub_f32_e32 v7, v87, v23
	v_sub_f32_e32 v8, v12, v18
	v_sub_f32_e32 v9, v123, v101
	v_fmac_f32_e32 v76, 0xbf737871, v6
	v_fmac_f32_e32 v91, 0x3f167918, v7
	v_add_f32_e32 v8, v8, v9
	v_fmac_f32_e32 v76, 0xbf167918, v7
	v_fmac_f32_e32 v91, 0x3e9e377a, v8
	;; [unrolled: 1-line block ×3, first 2 shown]
	v_add_f32_e32 v8, v12, v123
	v_fmac_f32_e32 v21, -0.5, v8
	v_mov_b32_e32 v23, v21
	v_fmac_f32_e32 v23, 0xbf737871, v7
	v_fmac_f32_e32 v21, 0x3f737871, v7
	;; [unrolled: 1-line block ×4, first 2 shown]
	v_add_f32_e32 v6, v11, v5
	v_add_f32_e32 v6, v6, v19
	;; [unrolled: 1-line block ×3, first 2 shown]
	v_sub_f32_e32 v8, v18, v12
	v_add_f32_e32 v18, v6, v14
	v_add_f32_e32 v6, v19, v122
	v_sub_f32_e32 v9, v101, v123
	v_fma_f32 v87, -0.5, v6, v11
	v_add_f32_e32 v8, v8, v9
	v_sub_f32_e32 v6, v4, v15
	v_mov_b32_e32 v7, v87
	v_fmac_f32_e32 v23, 0x3e9e377a, v8
	v_fmac_f32_e32 v21, 0x3e9e377a, v8
	;; [unrolled: 1-line block ×3, first 2 shown]
	v_sub_f32_e32 v8, v22, v95
	v_sub_f32_e32 v9, v5, v19
	;; [unrolled: 1-line block ×3, first 2 shown]
	v_fmac_f32_e32 v87, 0x3f737871, v6
	v_fmac_f32_e32 v7, 0xbf167918, v8
	v_add_f32_e32 v9, v9, v10
	v_fmac_f32_e32 v87, 0x3f167918, v8
	v_fmac_f32_e32 v7, 0x3e9e377a, v9
	;; [unrolled: 1-line block ×3, first 2 shown]
	v_add_f32_e32 v9, v5, v14
	v_fmac_f32_e32 v11, -0.5, v9
	v_mov_b32_e32 v92, v11
	v_fmac_f32_e32 v92, 0x3f737871, v8
	v_fmac_f32_e32 v11, 0xbf737871, v8
	;; [unrolled: 1-line block ×4, first 2 shown]
	v_add_f32_e32 v6, v13, v4
	v_add_f32_e32 v6, v6, v22
	v_mul_f32_e32 v59, v94, v100
	v_add_f32_e32 v6, v6, v95
	v_fmac_f32_e32 v59, v93, v99
	v_add_f32_e32 v93, v6, v15
	v_add_f32_e32 v6, v22, v95
	v_sub_f32_e32 v9, v19, v5
	v_sub_f32_e32 v10, v122, v14
	v_fma_f32 v94, -0.5, v6, v13
	v_add_f32_e32 v9, v9, v10
	v_sub_f32_e32 v5, v5, v14
	v_mov_b32_e32 v14, v94
	v_fmac_f32_e32 v92, 0x3e9e377a, v9
	v_fmac_f32_e32 v11, 0x3e9e377a, v9
	;; [unrolled: 1-line block ×3, first 2 shown]
	v_sub_f32_e32 v6, v19, v122
	v_sub_f32_e32 v8, v4, v22
	;; [unrolled: 1-line block ×3, first 2 shown]
	v_fmac_f32_e32 v94, 0xbf737871, v5
	v_fmac_f32_e32 v14, 0x3f167918, v6
	v_add_f32_e32 v8, v8, v9
	v_fmac_f32_e32 v94, 0xbf167918, v6
	v_fmac_f32_e32 v14, 0x3e9e377a, v8
	;; [unrolled: 1-line block ×3, first 2 shown]
	v_add_f32_e32 v8, v4, v15
	v_fmac_f32_e32 v13, -0.5, v8
	v_mov_b32_e32 v19, v13
	v_fmac_f32_e32 v19, 0xbf737871, v6
	v_sub_f32_e32 v4, v22, v4
	v_sub_f32_e32 v8, v95, v15
	v_fmac_f32_e32 v19, 0x3f167918, v5
	v_add_f32_e32 v4, v4, v8
	v_fmac_f32_e32 v13, 0x3f737871, v6
	ds_read_b64 v[24:25], v86
	ds_read_b64 v[2:3], v85
	v_fmac_f32_e32 v19, 0x3e9e377a, v4
	v_fmac_f32_e32 v13, 0xbf167918, v5
	v_mul_f32_e32 v52, v107, v98
	v_fmac_f32_e32 v13, 0x3e9e377a, v4
	v_mul_f32_e32 v22, 0xbf737871, v19
	v_mul_f32_e32 v98, 0x3e9e377a, v19
	;; [unrolled: 1-line block ×3, first 2 shown]
	v_fmac_f32_e32 v22, 0x3e9e377a, v92
	v_mul_f32_e32 v96, 0xbf167918, v94
	v_fmac_f32_e32 v98, 0x3f737871, v92
	v_mul_f32_e32 v92, 0xbe9e377a, v13
	v_mul_f32_e32 v94, 0xbf4f1bbd, v94
	v_fmac_f32_e32 v15, 0x3f4f1bbd, v7
	v_mul_f32_e32 v95, 0xbf737871, v13
	v_fmac_f32_e32 v92, 0x3f737871, v11
	v_fmac_f32_e32 v94, 0x3f167918, v87
	v_add_f32_e32 v8, v16, v18
	v_add_f32_e32 v6, v77, v15
	v_fmac_f32_e32 v95, 0xbe9e377a, v11
	v_add_f32_e32 v5, v23, v98
	v_add_f32_e32 v13, v21, v92
	;; [unrolled: 1-line block ×3, first 2 shown]
	v_sub_f32_e32 v18, v16, v18
	v_sub_f32_e32 v16, v77, v15
	;; [unrolled: 1-line block ×5, first 2 shown]
	s_waitcnt lgkmcnt(1)
	v_add_f32_e32 v76, v24, v27
	v_add_f32_e32 v76, v76, v41
	;; [unrolled: 1-line block ×5, first 2 shown]
	v_fmac_f32_e32 v52, v106, v97
	v_fmac_f32_e32 v96, 0xbf4f1bbd, v87
	v_mul_f32_e32 v97, 0x3f4f1bbd, v14
	v_fma_f32 v87, -0.5, v76, v24
	v_add_f32_e32 v4, v89, v22
	v_fmac_f32_e32 v97, 0x3f167918, v7
	v_sub_f32_e32 v14, v89, v22
	v_sub_f32_e32 v76, v26, v40
	v_mov_b32_e32 v89, v87
	v_add_f32_e32 v12, v20, v95
	v_add_f32_e32 v10, v17, v96
	;; [unrolled: 1-line block ×4, first 2 shown]
	v_sub_f32_e32 v22, v20, v95
	v_sub_f32_e32 v20, v17, v96
	;; [unrolled: 1-line block ×4, first 2 shown]
	v_fmac_f32_e32 v89, 0xbf737871, v76
	v_sub_f32_e32 v90, v38, v39
	v_sub_f32_e32 v91, v27, v41
	v_sub_f32_e32 v92, v43, v42
	v_fmac_f32_e32 v87, 0x3f737871, v76
	v_fmac_f32_e32 v89, 0xbf167918, v90
	v_add_f32_e32 v91, v91, v92
	v_fmac_f32_e32 v87, 0x3f167918, v90
	v_fmac_f32_e32 v89, 0x3e9e377a, v91
	;; [unrolled: 1-line block ×3, first 2 shown]
	v_add_f32_e32 v91, v27, v43
	v_fma_f32 v24, -0.5, v91, v24
	v_mov_b32_e32 v91, v24
	v_fmac_f32_e32 v91, 0x3f737871, v90
	v_fmac_f32_e32 v24, 0xbf737871, v90
	v_fmac_f32_e32 v91, 0xbf167918, v76
	v_fmac_f32_e32 v24, 0x3f167918, v76
	v_add_f32_e32 v76, v25, v26
	v_add_f32_e32 v76, v76, v38
	;; [unrolled: 1-line block ×5, first 2 shown]
	v_sub_f32_e32 v92, v41, v27
	v_sub_f32_e32 v93, v42, v43
	v_fma_f32 v76, -0.5, v76, v25
	v_add_f32_e32 v92, v92, v93
	v_sub_f32_e32 v27, v27, v43
	v_mov_b32_e32 v43, v76
	v_fmac_f32_e32 v91, 0x3e9e377a, v92
	v_fmac_f32_e32 v24, 0x3e9e377a, v92
	;; [unrolled: 1-line block ×3, first 2 shown]
	v_sub_f32_e32 v41, v41, v42
	v_sub_f32_e32 v42, v26, v38
	;; [unrolled: 1-line block ×3, first 2 shown]
	v_fmac_f32_e32 v76, 0xbf737871, v27
	v_fmac_f32_e32 v43, 0x3f167918, v41
	v_add_f32_e32 v42, v42, v92
	v_fmac_f32_e32 v76, 0xbf167918, v41
	v_fmac_f32_e32 v43, 0x3e9e377a, v42
	;; [unrolled: 1-line block ×3, first 2 shown]
	v_add_f32_e32 v42, v26, v40
	v_fmac_f32_e32 v25, -0.5, v42
	v_mov_b32_e32 v92, v25
	v_fmac_f32_e32 v92, 0xbf737871, v41
	v_sub_f32_e32 v26, v38, v26
	v_sub_f32_e32 v38, v39, v40
	v_fmac_f32_e32 v25, 0x3f737871, v41
	v_fmac_f32_e32 v92, 0x3f167918, v27
	v_add_f32_e32 v26, v26, v38
	v_fmac_f32_e32 v25, 0xbf167918, v27
	v_fmac_f32_e32 v92, 0x3e9e377a, v26
	;; [unrolled: 1-line block ×3, first 2 shown]
	v_add_f32_e32 v26, v33, v32
	v_add_f32_e32 v26, v26, v34
	;; [unrolled: 1-line block ×5, first 2 shown]
	v_fma_f32 v39, -0.5, v26, v33
	v_sub_f32_e32 v26, v28, v31
	v_mov_b32_e32 v27, v39
	v_fmac_f32_e32 v27, 0xbf737871, v26
	v_sub_f32_e32 v40, v29, v30
	v_sub_f32_e32 v41, v32, v34
	;; [unrolled: 1-line block ×3, first 2 shown]
	v_fmac_f32_e32 v39, 0x3f737871, v26
	v_fmac_f32_e32 v27, 0xbf167918, v40
	v_add_f32_e32 v41, v41, v42
	v_fmac_f32_e32 v39, 0x3f167918, v40
	v_fmac_f32_e32 v27, 0x3e9e377a, v41
	;; [unrolled: 1-line block ×3, first 2 shown]
	v_add_f32_e32 v41, v32, v37
	v_fmac_f32_e32 v33, -0.5, v41
	v_mov_b32_e32 v41, v33
	v_fmac_f32_e32 v41, 0x3f737871, v40
	v_fmac_f32_e32 v33, 0xbf737871, v40
	;; [unrolled: 1-line block ×4, first 2 shown]
	v_add_f32_e32 v26, v35, v28
	v_add_f32_e32 v26, v26, v29
	v_sub_f32_e32 v42, v34, v32
	v_sub_f32_e32 v93, v36, v37
	v_add_f32_e32 v26, v26, v30
	v_add_f32_e32 v42, v42, v93
	;; [unrolled: 1-line block ×4, first 2 shown]
	v_fma_f32 v40, -0.5, v26, v35
	v_sub_f32_e32 v26, v32, v37
	v_mov_b32_e32 v37, v40
	v_fmac_f32_e32 v37, 0x3f737871, v26
	v_sub_f32_e32 v32, v34, v36
	v_sub_f32_e32 v34, v28, v29
	v_sub_f32_e32 v36, v31, v30
	v_fmac_f32_e32 v40, 0xbf737871, v26
	v_fmac_f32_e32 v37, 0x3f167918, v32
	v_add_f32_e32 v34, v34, v36
	v_fmac_f32_e32 v40, 0xbf167918, v32
	v_fmac_f32_e32 v37, 0x3e9e377a, v34
	v_fmac_f32_e32 v40, 0x3e9e377a, v34
	v_add_f32_e32 v34, v28, v31
	v_fmac_f32_e32 v35, -0.5, v34
	v_mov_b32_e32 v36, v35
	v_sub_f32_e32 v28, v29, v28
	v_sub_f32_e32 v29, v30, v31
	v_fmac_f32_e32 v35, 0x3f737871, v32
	v_fmac_f32_e32 v36, 0xbf737871, v32
	v_add_f32_e32 v28, v28, v29
	v_fmac_f32_e32 v35, 0xbf167918, v26
	v_fmac_f32_e32 v58, v102, v54
	;; [unrolled: 1-line block ×7, first 2 shown]
	v_add_f32_e32 v30, v77, v38
	v_mul_f32_e32 v42, 0xbf167918, v37
	v_mul_f32_e32 v95, 0xbf737871, v35
	;; [unrolled: 1-line block ×4, first 2 shown]
	v_sub_f32_e32 v40, v77, v38
	v_add_f32_e32 v77, v58, v59
	v_fmac_f32_e32 v42, 0x3f4f1bbd, v27
	v_mul_f32_e32 v94, 0xbf737871, v36
	v_fmac_f32_e32 v95, 0xbe9e377a, v33
	v_fmac_f32_e32 v96, 0xbf4f1bbd, v39
	v_mul_f32_e32 v37, 0x3f4f1bbd, v37
	v_mul_f32_e32 v97, 0x3e9e377a, v36
	s_waitcnt lgkmcnt(0)
	v_fma_f32 v77, -0.5, v77, v2
	v_add_f32_e32 v28, v89, v42
	v_fmac_f32_e32 v94, 0x3e9e377a, v41
	v_add_f32_e32 v34, v24, v95
	v_add_f32_e32 v32, v87, v96
	v_fmac_f32_e32 v37, 0x3f167918, v27
	v_fmac_f32_e32 v97, 0x3f737871, v41
	v_sub_f32_e32 v38, v89, v42
	v_sub_f32_e32 v42, v24, v95
	v_sub_f32_e32 v24, v87, v96
	v_sub_f32_e32 v87, v44, v57
	v_mov_b32_e32 v89, v77
	v_add_f32_e32 v26, v91, v94
	v_add_f32_e32 v31, v90, v93
	;; [unrolled: 1-line block ×4, first 2 shown]
	v_fmac_f32_e32 v99, 0x3f167918, v39
	v_sub_f32_e32 v36, v91, v94
	v_sub_f32_e32 v41, v90, v93
	;; [unrolled: 1-line block ×4, first 2 shown]
	v_fmac_f32_e32 v89, 0xbf737871, v87
	v_sub_f32_e32 v90, v55, v56
	v_sub_f32_e32 v91, v45, v58
	;; [unrolled: 1-line block ×3, first 2 shown]
	v_fmac_f32_e32 v77, 0x3f737871, v87
	v_mul_f32_e32 v98, 0xbe9e377a, v35
	v_fmac_f32_e32 v89, 0xbf167918, v90
	v_add_f32_e32 v91, v91, v92
	v_fmac_f32_e32 v77, 0x3f167918, v90
	v_fmac_f32_e32 v98, 0x3f737871, v33
	v_fmac_f32_e32 v89, 0x3e9e377a, v91
	v_fmac_f32_e32 v77, 0x3e9e377a, v91
	v_add_f32_e32 v91, v45, v65
	v_add_f32_e32 v35, v25, v98
	;; [unrolled: 1-line block ×3, first 2 shown]
	v_sub_f32_e32 v43, v25, v98
	v_sub_f32_e32 v25, v76, v99
	v_add_f32_e32 v76, v2, v45
	v_fma_f32 v2, -0.5, v91, v2
	v_mov_b32_e32 v91, v2
	v_add_f32_e32 v76, v76, v58
	v_fmac_f32_e32 v91, 0x3f737871, v90
	v_fmac_f32_e32 v2, 0xbf737871, v90
	v_add_f32_e32 v90, v55, v56
	v_add_f32_e32 v76, v76, v59
	v_sub_f32_e32 v92, v58, v45
	v_sub_f32_e32 v93, v59, v65
	v_fma_f32 v90, -0.5, v90, v3
	v_add_f32_e32 v76, v76, v65
	v_fmac_f32_e32 v91, 0xbf167918, v87
	v_add_f32_e32 v92, v92, v93
	v_fmac_f32_e32 v2, 0x3f167918, v87
	v_sub_f32_e32 v45, v45, v65
	v_mov_b32_e32 v65, v90
	v_fmac_f32_e32 v91, 0x3e9e377a, v92
	v_fmac_f32_e32 v2, 0x3e9e377a, v92
	;; [unrolled: 1-line block ×3, first 2 shown]
	v_sub_f32_e32 v58, v58, v59
	v_sub_f32_e32 v59, v44, v55
	;; [unrolled: 1-line block ×3, first 2 shown]
	v_fmac_f32_e32 v90, 0xbf737871, v45
	v_fmac_f32_e32 v65, 0x3f167918, v58
	v_add_f32_e32 v59, v59, v92
	v_fmac_f32_e32 v90, 0xbf167918, v58
	v_fmac_f32_e32 v65, 0x3e9e377a, v59
	;; [unrolled: 1-line block ×3, first 2 shown]
	v_add_f32_e32 v59, v44, v57
	v_add_f32_e32 v87, v3, v44
	v_fmac_f32_e32 v3, -0.5, v59
	v_mov_b32_e32 v59, v3
	v_add_f32_e32 v87, v87, v55
	v_fmac_f32_e32 v59, 0xbf737871, v58
	v_sub_f32_e32 v44, v55, v44
	v_sub_f32_e32 v55, v56, v57
	v_fmac_f32_e32 v3, 0x3f737871, v58
	v_fmac_f32_e32 v59, 0x3f167918, v45
	v_add_f32_e32 v44, v44, v55
	v_fmac_f32_e32 v3, 0xbf167918, v45
	v_fmac_f32_e32 v59, 0x3e9e377a, v44
	v_fmac_f32_e32 v3, 0x3e9e377a, v44
	v_add_f32_e32 v44, v0, v49
	v_mul_f32_e32 v54, v117, v119
	v_add_f32_e32 v44, v44, v52
	v_fmac_f32_e32 v54, v116, v118
	v_add_f32_e32 v44, v44, v53
	v_add_f32_e32 v55, v44, v54
	;; [unrolled: 1-line block ×4, first 2 shown]
	v_fma_f32 v56, -0.5, v44, v0
	v_sub_f32_e32 v44, v46, v50
	v_mov_b32_e32 v45, v56
	v_add_f32_e32 v87, v87, v57
	v_fmac_f32_e32 v45, 0xbf737871, v44
	v_sub_f32_e32 v57, v47, v48
	v_sub_f32_e32 v58, v49, v52
	;; [unrolled: 1-line block ×3, first 2 shown]
	v_fmac_f32_e32 v56, 0x3f737871, v44
	v_fmac_f32_e32 v45, 0xbf167918, v57
	v_add_f32_e32 v58, v58, v92
	v_fmac_f32_e32 v56, 0x3f167918, v57
	v_fmac_f32_e32 v45, 0x3e9e377a, v58
	;; [unrolled: 1-line block ×3, first 2 shown]
	v_add_f32_e32 v58, v49, v54
	v_fmac_f32_e32 v0, -0.5, v58
	v_mov_b32_e32 v58, v0
	v_fmac_f32_e32 v58, 0x3f737871, v57
	v_fmac_f32_e32 v0, 0xbf737871, v57
	;; [unrolled: 1-line block ×4, first 2 shown]
	v_add_f32_e32 v44, v51, v46
	v_add_f32_e32 v44, v44, v47
	v_sub_f32_e32 v92, v52, v49
	v_sub_f32_e32 v93, v53, v54
	v_add_f32_e32 v44, v44, v48
	v_add_f32_e32 v92, v92, v93
	;; [unrolled: 1-line block ×4, first 2 shown]
	v_fmac_f32_e32 v58, 0x3e9e377a, v92
	v_fmac_f32_e32 v0, 0x3e9e377a, v92
	v_fma_f32 v92, -0.5, v44, v51
	v_sub_f32_e32 v44, v49, v54
	v_mov_b32_e32 v54, v92
	v_fmac_f32_e32 v54, 0x3f737871, v44
	v_sub_f32_e32 v49, v52, v53
	v_sub_f32_e32 v52, v46, v47
	;; [unrolled: 1-line block ×3, first 2 shown]
	v_fmac_f32_e32 v92, 0xbf737871, v44
	v_fmac_f32_e32 v54, 0x3f167918, v49
	v_add_f32_e32 v52, v52, v53
	v_fmac_f32_e32 v92, 0xbf167918, v49
	v_fmac_f32_e32 v54, 0x3e9e377a, v52
	;; [unrolled: 1-line block ×3, first 2 shown]
	v_add_f32_e32 v52, v46, v50
	v_fmac_f32_e32 v51, -0.5, v52
	v_mov_b32_e32 v53, v51
	v_sub_f32_e32 v46, v47, v46
	v_sub_f32_e32 v47, v48, v50
	v_fmac_f32_e32 v51, 0x3f737871, v49
	v_fmac_f32_e32 v53, 0xbf737871, v49
	v_add_f32_e32 v46, v46, v47
	v_fmac_f32_e32 v51, 0xbf167918, v44
	v_fmac_f32_e32 v53, 0x3f167918, v44
	;; [unrolled: 1-line block ×4, first 2 shown]
	v_mul_f32_e32 v95, 0xbf737871, v51
	v_mul_f32_e32 v99, 0xbe9e377a, v51
	v_fmac_f32_e32 v95, 0xbe9e377a, v0
	v_mul_f32_e32 v98, 0x3e9e377a, v53
	v_fmac_f32_e32 v99, 0x3f737871, v0
	v_mul_f32_e32 v0, 0xbf4f1bbd, v92
	v_mul_f32_e32 v93, 0xbf167918, v54
	;; [unrolled: 1-line block ×5, first 2 shown]
	v_fmac_f32_e32 v98, 0x3f737871, v58
	v_fmac_f32_e32 v0, 0x3f167918, v56
	v_add_f32_e32 v48, v76, v55
	v_fmac_f32_e32 v93, 0x3f4f1bbd, v45
	v_fmac_f32_e32 v94, 0x3e9e377a, v58
	;; [unrolled: 1-line block ×4, first 2 shown]
	v_add_f32_e32 v45, v59, v98
	v_add_f32_e32 v53, v3, v99
	v_sub_f32_e32 v76, v76, v55
	v_sub_f32_e32 v55, v59, v98
	v_sub_f32_e32 v59, v3, v99
	v_sub_f32_e32 v3, v90, v0
	v_add_f32_e32 v46, v89, v93
	v_add_f32_e32 v44, v91, v94
	;; [unrolled: 1-line block ×7, first 2 shown]
	v_sub_f32_e32 v56, v89, v93
	v_sub_f32_e32 v54, v91, v94
	;; [unrolled: 1-line block ×6, first 2 shown]
	s_barrier
	ds_write_b64 v88, v[8:9]
	ds_write_b64 v88, v[6:7] offset:2400
	ds_write_b64 v88, v[4:5] offset:4800
	ds_write_b64 v88, v[12:13] offset:7200
	ds_write_b64 v88, v[10:11] offset:9600
	ds_write_b64 v88, v[18:19] offset:12000
	ds_write_b64 v88, v[16:17] offset:14400
	ds_write_b64 v88, v[14:15] offset:16800
	ds_write_b64 v88, v[22:23] offset:19200
	ds_write_b64 v88, v[20:21] offset:21600
	ds_write_b64 v86, v[30:31]
	ds_write_b64 v86, v[28:29] offset:2400
	ds_write_b64 v86, v[26:27] offset:4800
	ds_write_b64 v86, v[34:35] offset:7200
	ds_write_b64 v86, v[32:33] offset:9600
	ds_write_b64 v86, v[40:41] offset:12000
	ds_write_b64 v86, v[38:39] offset:14400
	ds_write_b64 v86, v[36:37] offset:16800
	ds_write_b64 v86, v[42:43] offset:19200
	ds_write_b64 v86, v[24:25] offset:21600
	;; [unrolled: 10-line block ×3, first 2 shown]
	s_waitcnt lgkmcnt(0)
	s_barrier
	ds_read_b64 v[3:4], v88
	v_sub_u32_e32 v0, 0, v61
                                        ; implicit-def: $vgpr2
                                        ; implicit-def: $vgpr5
	s_and_saveexec_b64 s[4:5], vcc
	s_xor_b64 s[4:5], exec, s[4:5]
	s_cbranch_execz .LBB0_15
; %bb.14:
	v_mov_b32_e32 v61, v1
	v_lshlrev_b64 v[1:2], 3, v[60:61]
	v_mov_b32_e32 v5, s7
	v_add_co_u32_e32 v1, vcc, s6, v1
	v_addc_co_u32_e32 v2, vcc, v5, v2, vcc
	global_load_dwordx2 v[6:7], v[1:2], off
	ds_read_b64 v[1:2], v0 offset:24000
	s_waitcnt lgkmcnt(0)
	v_add_f32_e32 v8, v1, v3
	v_sub_f32_e32 v1, v3, v1
	v_add_f32_e32 v5, v2, v4
	v_sub_f32_e32 v2, v4, v2
	v_mul_f32_e32 v4, 0.5, v1
	v_mul_f32_e32 v1, 0.5, v2
	;; [unrolled: 1-line block ×3, first 2 shown]
	s_waitcnt vmcnt(0)
	v_mul_f32_e32 v2, v7, v4
	v_fma_f32 v9, 0.5, v8, v2
	v_fma_f32 v5, v3, v7, v1
	v_fma_f32 v7, v3, v7, -v1
	v_fma_f32 v1, v8, 0.5, -v2
	v_fmac_f32_e32 v9, v6, v3
	v_fma_f32 v5, -v6, v4, v5
	v_fma_f32 v1, -v6, v3, v1
	ds_write_b32 v88, v9
	v_fma_f32 v2, -v6, v4, v7
                                        ; implicit-def: $vgpr3_vgpr4
.LBB0_15:
	s_or_saveexec_b64 s[4:5], s[4:5]
	v_mul_i32_i24_e32 v6, 0xffffffb8, v64
	v_mul_i32_i24_e32 v7, 0xffffffb8, v75
	s_xor_b64 exec, exec, s[4:5]
	s_cbranch_execz .LBB0_17
; %bb.16:
	v_mov_b32_e32 v5, 0
	ds_read_b32 v2, v5 offset:12004
	s_waitcnt lgkmcnt(1)
	v_add_f32_e32 v8, v3, v4
	v_sub_f32_e32 v1, v3, v4
	ds_write_b32 v88, v8
	s_waitcnt lgkmcnt(1)
	v_xor_b32_e32 v2, 0x80000000, v2
	ds_write_b32 v5, v2 offset:12004
	v_mov_b32_e32 v2, v5
.LBB0_17:
	s_or_b64 exec, exec, s[4:5]
	v_mov_b32_e32 v65, 0
	s_waitcnt lgkmcnt(0)
	v_lshlrev_b64 v[3:4], 3, v[64:65]
	v_mov_b32_e32 v8, s7
	v_add_co_u32_e32 v3, vcc, s6, v3
	v_addc_co_u32_e32 v4, vcc, v8, v4, vcc
	global_load_dwordx2 v[3:4], v[3:4], off
	v_mov_b32_e32 v76, v65
	v_lshlrev_b64 v[8:9], 3, v[75:76]
	v_mov_b32_e32 v10, s7
	v_add_co_u32_e32 v8, vcc, s6, v8
	v_addc_co_u32_e32 v9, vcc, v10, v9, vcc
	global_load_dwordx2 v[8:9], v[8:9], off
	v_mov_b32_e32 v75, v65
	v_lshlrev_b64 v[10:11], 3, v[74:75]
	v_mov_b32_e32 v12, s7
	v_add_co_u32_e32 v10, vcc, s6, v10
	v_addc_co_u32_e32 v11, vcc, v12, v11, vcc
	global_load_dwordx2 v[10:11], v[10:11], off
	v_add_u32_e32 v18, v70, v6
	v_mov_b32_e32 v70, v65
	v_lshlrev_b64 v[12:13], 3, v[69:70]
	v_mov_b32_e32 v19, s7
	v_add_co_u32_e32 v12, vcc, s6, v12
	ds_write_b32 v88, v5 offset:4
	ds_write_b64 v0, v[1:2] offset:24000
	v_addc_co_u32_e32 v13, vcc, v19, v13, vcc
	ds_read_b64 v[1:2], v18
	ds_read_b64 v[5:6], v0 offset:23200
	global_load_dwordx2 v[12:13], v[12:13], off
	v_add_u32_e32 v7, v72, v7
	v_mov_b32_e32 v72, v65
	v_lshlrev_b64 v[14:15], 3, v[71:72]
	s_waitcnt lgkmcnt(0)
	v_add_f32_e32 v19, v1, v5
	v_sub_f32_e32 v1, v1, v5
	v_add_f32_e32 v22, v2, v6
	v_sub_f32_e32 v2, v2, v6
	v_mul_f32_e32 v6, 0.5, v1
	v_mul_f32_e32 v5, 0.5, v22
	;; [unrolled: 1-line block ×3, first 2 shown]
	v_mov_b32_e32 v20, s7
	v_mov_b32_e32 v74, v65
	v_lshlrev_b64 v[16:17], 3, v[73:74]
	v_mov_b32_e32 v21, s7
	v_mov_b32_e32 v69, v65
	v_add_u32_e32 v64, 0x3e8, v60
	s_waitcnt vmcnt(3)
	v_mul_f32_e32 v22, v4, v6
	v_fma_f32 v2, v5, v4, v1
	v_fma_f32 v4, v5, v4, -v1
	v_fma_f32 v1, 0.5, v19, v22
	v_fma_f32 v2, -v3, v6, v2
	v_fma_f32 v19, v19, 0.5, -v22
	v_fmac_f32_e32 v1, v3, v5
	v_fma_f32 v4, -v3, v6, v4
	v_fma_f32 v3, -v3, v5, v19
	ds_write_b64 v18, v[1:2]
	ds_write_b64 v0, v[3:4] offset:23200
	v_add_co_u32_e32 v5, vcc, s6, v14
	ds_read_b64 v[1:2], v7
	ds_read_b64 v[3:4], v0 offset:22400
	v_addc_co_u32_e32 v6, vcc, v20, v15, vcc
	global_load_dwordx2 v[5:6], v[5:6], off
	s_waitcnt lgkmcnt(0)
	v_add_f32_e32 v14, v1, v3
	v_sub_f32_e32 v1, v1, v3
	v_add_f32_e32 v15, v2, v4
	v_sub_f32_e32 v2, v2, v4
	v_mul_f32_e32 v4, 0.5, v1
	v_mul_f32_e32 v3, 0.5, v15
	;; [unrolled: 1-line block ×3, first 2 shown]
	s_waitcnt vmcnt(3)
	v_mul_f32_e32 v15, v9, v4
	v_fma_f32 v2, v3, v9, v1
	v_fma_f32 v9, v3, v9, -v1
	v_fma_f32 v1, 0.5, v14, v15
	v_fma_f32 v2, -v8, v4, v2
	v_fma_f32 v14, v14, 0.5, -v15
	v_fmac_f32_e32 v1, v8, v3
	v_fma_f32 v4, -v8, v4, v9
	v_fma_f32 v3, -v8, v3, v14
	ds_write_b64 v7, v[1:2]
	ds_write_b64 v0, v[3:4] offset:22400
	ds_read_b64 v[1:2], v83
	ds_read_b64 v[3:4], v0 offset:21600
	v_add_co_u32_e32 v7, vcc, s6, v16
	v_addc_co_u32_e32 v8, vcc, v21, v17, vcc
	global_load_dwordx2 v[7:8], v[7:8], off
	s_waitcnt lgkmcnt(0)
	v_add_f32_e32 v9, v1, v3
	v_sub_f32_e32 v1, v1, v3
	v_add_f32_e32 v14, v2, v4
	v_sub_f32_e32 v2, v2, v4
	v_mul_f32_e32 v4, 0.5, v1
	v_mul_f32_e32 v3, 0.5, v14
	;; [unrolled: 1-line block ×3, first 2 shown]
	s_waitcnt vmcnt(3)
	v_mul_f32_e32 v14, v11, v4
	v_fma_f32 v2, v3, v11, v1
	v_fma_f32 v11, v3, v11, -v1
	v_fma_f32 v1, 0.5, v9, v14
	v_fma_f32 v9, v9, 0.5, -v14
	v_fma_f32 v2, -v10, v4, v2
	v_fmac_f32_e32 v1, v10, v3
	v_fma_f32 v3, -v10, v3, v9
	v_fma_f32 v4, -v10, v4, v11
	ds_write_b64 v83, v[1:2]
	ds_write_b64 v0, v[3:4] offset:21600
	ds_read_b64 v[1:2], v84
	ds_read_b64 v[3:4], v0 offset:20800
	s_waitcnt lgkmcnt(0)
	v_add_f32_e32 v9, v1, v3
	v_sub_f32_e32 v1, v1, v3
	v_add_f32_e32 v10, v2, v4
	v_sub_f32_e32 v2, v2, v4
	v_mul_f32_e32 v11, 0.5, v1
	v_mul_f32_e32 v10, 0.5, v10
	;; [unrolled: 1-line block ×3, first 2 shown]
	s_waitcnt vmcnt(2)
	v_mul_f32_e32 v4, v13, v11
	v_fma_f32 v1, 0.5, v9, v4
	v_fma_f32 v2, v10, v13, v3
	v_fmac_f32_e32 v1, v12, v10
	v_fma_f32 v2, -v12, v11, v2
	ds_write_b64 v84, v[1:2]
	v_fma_f32 v1, v9, 0.5, -v4
	v_fma_f32 v9, v10, v13, -v3
	v_lshlrev_b64 v[2:3], 3, v[68:69]
	v_mov_b32_e32 v4, s7
	v_add_co_u32_e32 v2, vcc, s6, v2
	v_addc_co_u32_e32 v3, vcc, v4, v3, vcc
	global_load_dwordx2 v[3:4], v[2:3], off
	v_fma_f32 v1, -v12, v10, v1
	v_fma_f32 v2, -v12, v11, v9
	ds_write_b64 v0, v[1:2] offset:20800
	ds_read_b64 v[1:2], v81
	ds_read_b64 v[9:10], v0 offset:20000
	v_mov_b32_e32 v68, v65
	s_waitcnt lgkmcnt(0)
	v_add_f32_e32 v11, v1, v9
	v_add_f32_e32 v12, v2, v10
	v_sub_f32_e32 v1, v1, v9
	v_sub_f32_e32 v2, v2, v10
	v_mul_f32_e32 v13, 0.5, v1
	v_mul_f32_e32 v14, 0.5, v2
	v_lshlrev_b64 v[1:2], 3, v[67:68]
	v_mul_f32_e32 v12, 0.5, v12
	v_mov_b32_e32 v9, s7
	v_add_co_u32_e32 v1, vcc, s6, v1
	s_waitcnt vmcnt(2)
	v_mul_f32_e32 v15, v6, v13
	v_addc_co_u32_e32 v2, vcc, v9, v2, vcc
	v_fma_f32 v9, 0.5, v11, v15
	v_fma_f32 v10, v12, v6, v14
	v_fmac_f32_e32 v9, v5, v12
	v_fma_f32 v10, -v5, v13, v10
	ds_write_b64 v81, v[9:10]
	v_fma_f32 v9, v11, 0.5, -v15
	v_fma_f32 v6, v12, v6, -v14
	global_load_dwordx2 v[1:2], v[1:2], off
	v_fma_f32 v9, -v5, v12, v9
	v_fma_f32 v10, -v5, v13, v6
	ds_write_b64 v0, v[9:10] offset:20000
	ds_read_b64 v[5:6], v82
	ds_read_b64 v[9:10], v0 offset:19200
	v_mov_b32_e32 v67, v65
	s_waitcnt lgkmcnt(0)
	v_add_f32_e32 v11, v5, v9
	v_sub_f32_e32 v5, v5, v9
	v_add_f32_e32 v12, v6, v10
	v_sub_f32_e32 v6, v6, v10
	v_mul_f32_e32 v9, 0.5, v5
	v_mul_f32_e32 v12, 0.5, v12
	;; [unrolled: 1-line block ×3, first 2 shown]
	s_waitcnt vmcnt(2)
	v_mul_f32_e32 v13, v8, v9
	v_fma_f32 v5, 0.5, v11, v13
	v_fma_f32 v6, v12, v8, v10
	v_fmac_f32_e32 v5, v7, v12
	v_fma_f32 v6, -v7, v9, v6
	ds_write_b64 v82, v[5:6]
	v_fma_f32 v6, v12, v8, -v10
	v_fma_f32 v6, -v7, v9, v6
	v_lshlrev_b64 v[9:10], 3, v[66:67]
	v_fma_f32 v5, v11, 0.5, -v13
	v_fma_f32 v5, -v7, v12, v5
	v_mov_b32_e32 v11, s7
	v_add_co_u32_e32 v9, vcc, s6, v9
	ds_write_b64 v0, v[5:6] offset:19200
	v_addc_co_u32_e32 v10, vcc, v11, v10, vcc
	ds_read_b64 v[5:6], v80
	ds_read_b64 v[7:8], v0 offset:18400
	global_load_dwordx2 v[9:10], v[9:10], off
	s_waitcnt lgkmcnt(0)
	v_add_f32_e32 v11, v5, v7
	v_sub_f32_e32 v5, v5, v7
	v_add_f32_e32 v12, v6, v8
	v_sub_f32_e32 v6, v6, v8
	v_mul_f32_e32 v7, 0.5, v5
	v_mul_f32_e32 v12, 0.5, v12
	;; [unrolled: 1-line block ×3, first 2 shown]
	s_waitcnt vmcnt(2)
	v_mul_f32_e32 v13, v4, v7
	v_fma_f32 v5, 0.5, v11, v13
	v_fma_f32 v6, v12, v4, v8
	v_fmac_f32_e32 v5, v3, v12
	v_fma_f32 v6, -v3, v7, v6
	v_fma_f32 v4, v12, v4, -v8
	ds_write_b64 v80, v[5:6]
	v_fma_f32 v6, -v3, v7, v4
	v_lshlrev_b64 v[7:8], 3, v[64:65]
	v_fma_f32 v5, v11, 0.5, -v13
	v_fma_f32 v5, -v3, v12, v5
	v_mov_b32_e32 v11, s7
	v_add_co_u32_e32 v7, vcc, s6, v7
	ds_write_b64 v0, v[5:6] offset:18400
	v_addc_co_u32_e32 v8, vcc, v11, v8, vcc
	ds_read_b64 v[3:4], v79
	ds_read_b64 v[5:6], v0 offset:17600
	global_load_dwordx2 v[7:8], v[7:8], off
	v_add_u32_e32 v64, 0x44c, v60
	s_waitcnt lgkmcnt(0)
	v_add_f32_e32 v11, v3, v5
	v_sub_f32_e32 v3, v3, v5
	v_add_f32_e32 v12, v4, v6
	v_sub_f32_e32 v4, v4, v6
	v_mul_f32_e32 v5, 0.5, v3
	v_mul_f32_e32 v12, 0.5, v12
	;; [unrolled: 1-line block ×3, first 2 shown]
	s_waitcnt vmcnt(2)
	v_mul_f32_e32 v13, v2, v5
	v_fma_f32 v3, 0.5, v11, v13
	v_fma_f32 v4, v12, v2, v6
	v_fmac_f32_e32 v3, v1, v12
	v_fma_f32 v4, -v1, v5, v4
	v_fma_f32 v2, v12, v2, -v6
	ds_write_b64 v79, v[3:4]
	v_fma_f32 v4, -v1, v5, v2
	v_lshlrev_b64 v[5:6], 3, v[64:65]
	v_fma_f32 v3, v11, 0.5, -v13
	v_fma_f32 v3, -v1, v12, v3
	v_mov_b32_e32 v11, s7
	v_add_co_u32_e32 v5, vcc, s6, v5
	ds_write_b64 v0, v[3:4] offset:17600
	v_addc_co_u32_e32 v6, vcc, v11, v6, vcc
	ds_read_b64 v[1:2], v78
	ds_read_b64 v[3:4], v0 offset:16800
	global_load_dwordx2 v[5:6], v[5:6], off
	v_add_u32_e32 v64, 0x4b0, v60
	s_waitcnt lgkmcnt(0)
	v_add_f32_e32 v11, v1, v3
	v_add_f32_e32 v12, v2, v4
	v_sub_f32_e32 v1, v1, v3
	v_sub_f32_e32 v2, v2, v4
	v_mul_f32_e32 v13, 0.5, v1
	v_mul_f32_e32 v14, 0.5, v2
	v_lshlrev_b64 v[1:2], 3, v[64:65]
	v_mul_f32_e32 v12, 0.5, v12
	v_mov_b32_e32 v3, s7
	v_add_co_u32_e32 v1, vcc, s6, v1
	v_addc_co_u32_e32 v2, vcc, v3, v2, vcc
	global_load_dwordx2 v[1:2], v[1:2], off
	s_waitcnt vmcnt(3)
	v_mul_f32_e32 v15, v10, v13
	v_fma_f32 v3, 0.5, v11, v15
	v_fma_f32 v4, v12, v10, v14
	v_fmac_f32_e32 v3, v9, v12
	v_fma_f32 v4, -v9, v13, v4
	ds_write_b64 v78, v[3:4]
	v_fma_f32 v3, v11, 0.5, -v15
	v_fma_f32 v4, v12, v10, -v14
	v_fma_f32 v3, -v9, v12, v3
	v_fma_f32 v4, -v9, v13, v4
	ds_write_b64 v0, v[3:4] offset:16800
	ds_read_b64 v[3:4], v88 offset:8000
	ds_read_b64 v[9:10], v0 offset:16000
	v_add_u32_e32 v64, 0x514, v60
	s_waitcnt lgkmcnt(0)
	v_add_f32_e32 v11, v4, v10
	v_mul_f32_e32 v14, 0.5, v11
	v_lshlrev_b64 v[11:12], 3, v[64:65]
	v_add_f32_e32 v13, v3, v9
	v_sub_f32_e32 v3, v3, v9
	v_mov_b32_e32 v9, s7
	v_add_co_u32_e32 v11, vcc, s6, v11
	v_addc_co_u32_e32 v12, vcc, v9, v12, vcc
	global_load_dwordx2 v[11:12], v[11:12], off
	v_sub_f32_e32 v4, v4, v10
	v_mul_f32_e32 v9, 0.5, v3
	v_mul_f32_e32 v10, 0.5, v4
	v_add_u32_e32 v64, 0x578, v60
	s_waitcnt vmcnt(3)
	v_mul_f32_e32 v15, v8, v9
	v_fma_f32 v3, 0.5, v13, v15
	v_fma_f32 v4, v14, v8, v10
	v_fmac_f32_e32 v3, v7, v14
	v_fma_f32 v4, -v7, v9, v4
	ds_write_b64 v88, v[3:4] offset:8000
	v_fma_f32 v4, v14, v8, -v10
	v_fma_f32 v4, -v7, v9, v4
	v_lshlrev_b64 v[9:10], 3, v[64:65]
	v_fma_f32 v3, v13, 0.5, -v15
	v_fma_f32 v3, -v7, v14, v3
	v_mov_b32_e32 v13, s7
	v_add_co_u32_e32 v9, vcc, s6, v9
	ds_write_b64 v0, v[3:4] offset:16000
	v_addc_co_u32_e32 v10, vcc, v13, v10, vcc
	ds_read_b64 v[3:4], v88 offset:8800
	ds_read_b64 v[7:8], v0 offset:15200
	global_load_dwordx2 v[9:10], v[9:10], off
	s_waitcnt lgkmcnt(0)
	v_add_f32_e32 v13, v3, v7
	v_sub_f32_e32 v3, v3, v7
	v_add_f32_e32 v14, v4, v8
	v_sub_f32_e32 v4, v4, v8
	v_mul_f32_e32 v7, 0.5, v3
	v_mul_f32_e32 v14, 0.5, v14
	v_mul_f32_e32 v8, 0.5, v4
	s_waitcnt vmcnt(3)
	v_mul_f32_e32 v15, v6, v7
	v_fma_f32 v3, 0.5, v13, v15
	v_fma_f32 v4, v14, v6, v8
	v_fmac_f32_e32 v3, v5, v14
	v_fma_f32 v4, -v5, v7, v4
	ds_write_b64 v88, v[3:4] offset:8800
	v_fma_f32 v3, v13, 0.5, -v15
	v_fma_f32 v4, v14, v6, -v8
	v_fma_f32 v3, -v5, v14, v3
	v_fma_f32 v4, -v5, v7, v4
	ds_write_b64 v0, v[3:4] offset:15200
	ds_read_b64 v[3:4], v88 offset:9600
	ds_read_b64 v[5:6], v0 offset:14400
	s_waitcnt lgkmcnt(0)
	v_add_f32_e32 v7, v3, v5
	v_sub_f32_e32 v3, v3, v5
	v_add_f32_e32 v8, v4, v6
	v_sub_f32_e32 v4, v4, v6
	v_mul_f32_e32 v5, 0.5, v3
	v_mul_f32_e32 v8, 0.5, v8
	v_mul_f32_e32 v6, 0.5, v4
	s_waitcnt vmcnt(2)
	v_mul_f32_e32 v13, v2, v5
	v_fma_f32 v3, 0.5, v7, v13
	v_fma_f32 v4, v8, v2, v6
	v_fmac_f32_e32 v3, v1, v8
	v_fma_f32 v4, -v1, v5, v4
	ds_write_b64 v88, v[3:4] offset:9600
	v_fma_f32 v3, v7, 0.5, -v13
	v_fma_f32 v2, v8, v2, -v6
	v_fma_f32 v3, -v1, v8, v3
	v_fma_f32 v4, -v1, v5, v2
	ds_write_b64 v0, v[3:4] offset:14400
	ds_read_b64 v[1:2], v88 offset:10400
	ds_read_b64 v[3:4], v0 offset:13600
	;; [unrolled: 22-line block ×3, first 2 shown]
	s_waitcnt lgkmcnt(0)
	v_add_f32_e32 v5, v1, v3
	v_sub_f32_e32 v1, v1, v3
	v_add_f32_e32 v6, v2, v4
	v_sub_f32_e32 v2, v2, v4
	v_mul_f32_e32 v3, 0.5, v1
	v_mul_f32_e32 v6, 0.5, v6
	;; [unrolled: 1-line block ×3, first 2 shown]
	s_waitcnt vmcnt(0)
	v_mul_f32_e32 v7, v10, v3
	v_fma_f32 v1, 0.5, v5, v7
	v_fma_f32 v2, v6, v10, v4
	v_fmac_f32_e32 v1, v9, v6
	v_fma_f32 v2, -v9, v3, v2
	ds_write_b64 v88, v[1:2] offset:11200
	v_fma_f32 v1, v5, 0.5, -v7
	v_fma_f32 v2, v6, v10, -v4
	v_fma_f32 v1, -v9, v6, v1
	v_fma_f32 v2, -v9, v3, v2
	ds_write_b64 v0, v[1:2] offset:12800
	s_waitcnt lgkmcnt(0)
	s_barrier
	s_and_saveexec_b64 s[4:5], s[0:1]
	s_cbranch_execz .LBB0_20
; %bb.18:
	v_mov_b32_e32 v61, v65
	v_mov_b32_e32 v0, s3
	v_add_co_u32_e32 v1, vcc, s2, v62
	v_lshlrev_b64 v[6:7], 3, v[60:61]
	ds_read2_b64 v[2:5], v88 offset1:100
	v_addc_co_u32_e32 v0, vcc, v0, v63, vcc
	v_add_co_u32_e32 v14, vcc, v1, v6
	v_add_u32_e32 v6, 0x400, v88
	v_addc_co_u32_e32 v15, vcc, v0, v7, vcc
	ds_read2_b64 v[6:9], v6 offset0:72 offset1:172
	v_add_u32_e32 v10, 0x800, v88
	ds_read2_b64 v[10:13], v10 offset0:144 offset1:244
	s_waitcnt lgkmcnt(2)
	global_store_dwordx2 v[14:15], v[2:3], off
	global_store_dwordx2 v[14:15], v[4:5], off offset:800
	s_waitcnt lgkmcnt(1)
	global_store_dwordx2 v[14:15], v[6:7], off offset:1600
	global_store_dwordx2 v[14:15], v[8:9], off offset:2400
	s_waitcnt lgkmcnt(0)
	global_store_dwordx2 v[14:15], v[10:11], off offset:3200
	global_store_dwordx2 v[14:15], v[12:13], off offset:4000
	v_add_u32_e32 v2, 0x1000, v88
	ds_read2_b64 v[2:5], v2 offset0:88 offset1:188
	v_add_u32_e32 v6, 0x1800, v88
	s_movk_i32 s0, 0x1000
	ds_read2_b64 v[6:9], v6 offset0:32 offset1:132
	v_add_co_u32_e32 v16, vcc, s0, v14
	v_add_u32_e32 v10, 0x1c00, v88
	v_addc_co_u32_e32 v17, vcc, 0, v15, vcc
	ds_read2_b64 v[10:13], v10 offset0:104 offset1:204
	s_waitcnt lgkmcnt(2)
	global_store_dwordx2 v[16:17], v[2:3], off offset:704
	global_store_dwordx2 v[16:17], v[4:5], off offset:1504
	s_waitcnt lgkmcnt(1)
	global_store_dwordx2 v[16:17], v[6:7], off offset:2304
	global_store_dwordx2 v[16:17], v[8:9], off offset:3104
	s_waitcnt lgkmcnt(0)
	global_store_dwordx2 v[16:17], v[10:11], off offset:3904
	v_add_u32_e32 v2, 0x2400, v88
	ds_read2_b64 v[2:5], v2 offset0:48 offset1:148
	s_movk_i32 s0, 0x2000
	v_add_u32_e32 v6, 0x2800, v88
	ds_read2_b64 v[6:9], v6 offset0:120 offset1:220
	v_add_co_u32_e32 v10, vcc, s0, v14
	v_addc_co_u32_e32 v11, vcc, 0, v15, vcc
	global_store_dwordx2 v[10:11], v[12:13], off offset:608
	s_waitcnt lgkmcnt(1)
	global_store_dwordx2 v[10:11], v[2:3], off offset:1408
	global_store_dwordx2 v[10:11], v[4:5], off offset:2208
	s_waitcnt lgkmcnt(0)
	global_store_dwordx2 v[10:11], v[6:7], off offset:3008
	global_store_dwordx2 v[10:11], v[8:9], off offset:3808
	v_add_u32_e32 v2, 0x3000, v88
	ds_read2_b64 v[2:5], v2 offset0:64 offset1:164
	v_add_u32_e32 v6, 0x3800, v88
	s_movk_i32 s0, 0x3000
	ds_read2_b64 v[6:9], v6 offset0:8 offset1:108
	v_add_co_u32_e32 v16, vcc, s0, v14
	v_add_u32_e32 v10, 0x3c00, v88
	v_addc_co_u32_e32 v17, vcc, 0, v15, vcc
	ds_read2_b64 v[10:13], v10 offset0:80 offset1:180
	s_waitcnt lgkmcnt(2)
	global_store_dwordx2 v[16:17], v[2:3], off offset:512
	global_store_dwordx2 v[16:17], v[4:5], off offset:1312
	s_waitcnt lgkmcnt(1)
	global_store_dwordx2 v[16:17], v[6:7], off offset:2112
	global_store_dwordx2 v[16:17], v[8:9], off offset:2912
	s_waitcnt lgkmcnt(0)
	global_store_dwordx2 v[16:17], v[10:11], off offset:3712
	v_add_u32_e32 v2, 0x4000, v88
	ds_read2_b64 v[2:5], v2 offset0:152 offset1:252
	s_movk_i32 s0, 0x4000
	v_add_u32_e32 v6, 0x4800, v88
	ds_read2_b64 v[6:9], v6 offset0:96 offset1:196
	v_add_co_u32_e32 v10, vcc, s0, v14
	v_addc_co_u32_e32 v11, vcc, 0, v15, vcc
	global_store_dwordx2 v[10:11], v[12:13], off offset:416
	s_waitcnt lgkmcnt(1)
	global_store_dwordx2 v[10:11], v[2:3], off offset:1216
	global_store_dwordx2 v[10:11], v[4:5], off offset:2016
	s_waitcnt lgkmcnt(0)
	global_store_dwordx2 v[10:11], v[6:7], off offset:2816
	global_store_dwordx2 v[10:11], v[8:9], off offset:3616
	v_add_u32_e32 v2, 0x5000, v88
	ds_read2_b64 v[2:5], v2 offset0:40 offset1:140
	v_add_u32_e32 v6, 0x5400, v88
	v_add_co_u32_e32 v10, vcc, 0x5000, v14
	ds_read2_b64 v[6:9], v6 offset0:112 offset1:212
	v_addc_co_u32_e32 v11, vcc, 0, v15, vcc
	s_movk_i32 s0, 0x63
	v_cmp_eq_u32_e32 vcc, s0, v60
	s_waitcnt lgkmcnt(1)
	global_store_dwordx2 v[10:11], v[2:3], off offset:320
	global_store_dwordx2 v[10:11], v[4:5], off offset:1120
	s_waitcnt lgkmcnt(0)
	global_store_dwordx2 v[10:11], v[6:7], off offset:1920
	global_store_dwordx2 v[10:11], v[8:9], off offset:2720
	s_and_b64 exec, exec, vcc
	s_cbranch_execz .LBB0_20
; %bb.19:
	v_mov_b32_e32 v2, 0
	ds_read_b64 v[2:3], v2 offset:24000
	v_add_co_u32_e32 v4, vcc, 0x5000, v1
	v_addc_co_u32_e32 v5, vcc, 0, v0, vcc
	s_waitcnt lgkmcnt(0)
	global_store_dwordx2 v[4:5], v[2:3], off offset:3520
.LBB0_20:
	s_endpgm
	.section	.rodata,"a",@progbits
	.p2align	6, 0x0
	.amdhsa_kernel fft_rtc_back_len3000_factors_10_3_10_10_wgs_100_tpt_100_halfLds_sp_ip_CI_unitstride_sbrr_R2C_dirReg
		.amdhsa_group_segment_fixed_size 0
		.amdhsa_private_segment_fixed_size 0
		.amdhsa_kernarg_size 88
		.amdhsa_user_sgpr_count 6
		.amdhsa_user_sgpr_private_segment_buffer 1
		.amdhsa_user_sgpr_dispatch_ptr 0
		.amdhsa_user_sgpr_queue_ptr 0
		.amdhsa_user_sgpr_kernarg_segment_ptr 1
		.amdhsa_user_sgpr_dispatch_id 0
		.amdhsa_user_sgpr_flat_scratch_init 0
		.amdhsa_user_sgpr_private_segment_size 0
		.amdhsa_uses_dynamic_stack 0
		.amdhsa_system_sgpr_private_segment_wavefront_offset 0
		.amdhsa_system_sgpr_workgroup_id_x 1
		.amdhsa_system_sgpr_workgroup_id_y 0
		.amdhsa_system_sgpr_workgroup_id_z 0
		.amdhsa_system_sgpr_workgroup_info 0
		.amdhsa_system_vgpr_workitem_id 0
		.amdhsa_next_free_vgpr 137
		.amdhsa_next_free_sgpr 22
		.amdhsa_reserve_vcc 1
		.amdhsa_reserve_flat_scratch 0
		.amdhsa_float_round_mode_32 0
		.amdhsa_float_round_mode_16_64 0
		.amdhsa_float_denorm_mode_32 3
		.amdhsa_float_denorm_mode_16_64 3
		.amdhsa_dx10_clamp 1
		.amdhsa_ieee_mode 1
		.amdhsa_fp16_overflow 0
		.amdhsa_exception_fp_ieee_invalid_op 0
		.amdhsa_exception_fp_denorm_src 0
		.amdhsa_exception_fp_ieee_div_zero 0
		.amdhsa_exception_fp_ieee_overflow 0
		.amdhsa_exception_fp_ieee_underflow 0
		.amdhsa_exception_fp_ieee_inexact 0
		.amdhsa_exception_int_div_zero 0
	.end_amdhsa_kernel
	.text
.Lfunc_end0:
	.size	fft_rtc_back_len3000_factors_10_3_10_10_wgs_100_tpt_100_halfLds_sp_ip_CI_unitstride_sbrr_R2C_dirReg, .Lfunc_end0-fft_rtc_back_len3000_factors_10_3_10_10_wgs_100_tpt_100_halfLds_sp_ip_CI_unitstride_sbrr_R2C_dirReg
                                        ; -- End function
	.section	.AMDGPU.csdata,"",@progbits
; Kernel info:
; codeLenInByte = 18540
; NumSgprs: 26
; NumVgprs: 137
; ScratchSize: 0
; MemoryBound: 0
; FloatMode: 240
; IeeeMode: 1
; LDSByteSize: 0 bytes/workgroup (compile time only)
; SGPRBlocks: 3
; VGPRBlocks: 34
; NumSGPRsForWavesPerEU: 26
; NumVGPRsForWavesPerEU: 137
; Occupancy: 1
; WaveLimiterHint : 1
; COMPUTE_PGM_RSRC2:SCRATCH_EN: 0
; COMPUTE_PGM_RSRC2:USER_SGPR: 6
; COMPUTE_PGM_RSRC2:TRAP_HANDLER: 0
; COMPUTE_PGM_RSRC2:TGID_X_EN: 1
; COMPUTE_PGM_RSRC2:TGID_Y_EN: 0
; COMPUTE_PGM_RSRC2:TGID_Z_EN: 0
; COMPUTE_PGM_RSRC2:TIDIG_COMP_CNT: 0
	.type	__hip_cuid_7ffa435e09b9903f,@object ; @__hip_cuid_7ffa435e09b9903f
	.section	.bss,"aw",@nobits
	.globl	__hip_cuid_7ffa435e09b9903f
__hip_cuid_7ffa435e09b9903f:
	.byte	0                               ; 0x0
	.size	__hip_cuid_7ffa435e09b9903f, 1

	.ident	"AMD clang version 19.0.0git (https://github.com/RadeonOpenCompute/llvm-project roc-6.4.0 25133 c7fe45cf4b819c5991fe208aaa96edf142730f1d)"
	.section	".note.GNU-stack","",@progbits
	.addrsig
	.addrsig_sym __hip_cuid_7ffa435e09b9903f
	.amdgpu_metadata
---
amdhsa.kernels:
  - .args:
      - .actual_access:  read_only
        .address_space:  global
        .offset:         0
        .size:           8
        .value_kind:     global_buffer
      - .offset:         8
        .size:           8
        .value_kind:     by_value
      - .actual_access:  read_only
        .address_space:  global
        .offset:         16
        .size:           8
        .value_kind:     global_buffer
      - .actual_access:  read_only
        .address_space:  global
        .offset:         24
        .size:           8
        .value_kind:     global_buffer
      - .offset:         32
        .size:           8
        .value_kind:     by_value
      - .actual_access:  read_only
        .address_space:  global
        .offset:         40
        .size:           8
        .value_kind:     global_buffer
      - .actual_access:  read_only
        .address_space:  global
        .offset:         48
        .size:           8
        .value_kind:     global_buffer
      - .offset:         56
        .size:           4
        .value_kind:     by_value
      - .actual_access:  read_only
        .address_space:  global
        .offset:         64
        .size:           8
        .value_kind:     global_buffer
      - .actual_access:  read_only
        .address_space:  global
        .offset:         72
        .size:           8
        .value_kind:     global_buffer
      - .address_space:  global
        .offset:         80
        .size:           8
        .value_kind:     global_buffer
    .group_segment_fixed_size: 0
    .kernarg_segment_align: 8
    .kernarg_segment_size: 88
    .language:       OpenCL C
    .language_version:
      - 2
      - 0
    .max_flat_workgroup_size: 100
    .name:           fft_rtc_back_len3000_factors_10_3_10_10_wgs_100_tpt_100_halfLds_sp_ip_CI_unitstride_sbrr_R2C_dirReg
    .private_segment_fixed_size: 0
    .sgpr_count:     26
    .sgpr_spill_count: 0
    .symbol:         fft_rtc_back_len3000_factors_10_3_10_10_wgs_100_tpt_100_halfLds_sp_ip_CI_unitstride_sbrr_R2C_dirReg.kd
    .uniform_work_group_size: 1
    .uses_dynamic_stack: false
    .vgpr_count:     137
    .vgpr_spill_count: 0
    .wavefront_size: 64
amdhsa.target:   amdgcn-amd-amdhsa--gfx906
amdhsa.version:
  - 1
  - 2
...

	.end_amdgpu_metadata
